;; amdgpu-corpus repo=ROCm/rocFFT kind=compiled arch=gfx906 opt=O3
	.text
	.amdgcn_target "amdgcn-amd-amdhsa--gfx906"
	.amdhsa_code_object_version 6
	.protected	bluestein_single_back_len510_dim1_dp_op_CI_CI ; -- Begin function bluestein_single_back_len510_dim1_dp_op_CI_CI
	.globl	bluestein_single_back_len510_dim1_dp_op_CI_CI
	.p2align	8
	.type	bluestein_single_back_len510_dim1_dp_op_CI_CI,@function
bluestein_single_back_len510_dim1_dp_op_CI_CI: ; @bluestein_single_back_len510_dim1_dp_op_CI_CI
; %bb.0:
	s_mov_b64 s[66:67], s[2:3]
	v_mul_u32_u24_e32 v1, 0x788, v0
	s_mov_b64 s[64:65], s[0:1]
	s_load_dwordx4 s[0:3], s[4:5], 0x28
	v_lshrrev_b32_e32 v1, 16, v1
	s_add_u32 s64, s64, s7
	v_mad_u64_u32 v[4:5], s[6:7], s6, 7, v[1:2]
	v_mov_b32_e32 v5, 0
	s_addc_u32 s65, s65, 0
	s_waitcnt lgkmcnt(0)
	v_cmp_gt_u64_e32 vcc, s[0:1], v[4:5]
	s_and_saveexec_b64 s[0:1], vcc
	s_cbranch_execz .LBB0_23
; %bb.1:
	s_mov_b32 s0, 0x24924925
	v_mul_hi_u32 v2, v4, s0
	v_mul_lo_u16_e32 v1, 34, v1
	s_load_dwordx2 s[12:13], s[4:5], 0x0
	s_load_dwordx2 s[14:15], s[4:5], 0x38
	v_sub_u16_e32 v255, v0, v1
	v_sub_u32_e32 v3, v4, v2
	v_lshrrev_b32_e32 v3, 1, v3
	v_add_u32_e32 v2, v3, v2
	v_lshrrev_b32_e32 v2, 2, v2
	v_mul_lo_u32 v2, v2, 7
	v_mov_b32_e32 v0, v4
	buffer_store_dword v0, off, s[64:67], 0 offset:20 ; 4-byte Folded Spill
	s_nop 0
	buffer_store_dword v1, off, s[64:67], 0 offset:24 ; 4-byte Folded Spill
	v_cmp_gt_u16_e32 vcc, 30, v255
	v_sub_u32_e32 v0, v4, v2
	v_mul_u32_u24_e32 v253, 0x1fe, v0
	v_lshlrev_b32_e32 v254, 4, v255
	v_lshlrev_b32_e32 v0, 4, v253
	buffer_store_dword v0, off, s[64:67], 0 offset:16 ; 4-byte Folded Spill
	s_and_saveexec_b64 s[6:7], vcc
	s_cbranch_execz .LBB0_3
; %bb.2:
	s_load_dwordx2 s[0:1], s[4:5], 0x18
	s_waitcnt lgkmcnt(0)
	v_mov_b32_e32 v44, s13
	v_or_b32_e32 v129, 0x1e0, v255
	s_load_dwordx4 s[8:11], s[0:1], 0x0
	buffer_load_dword v0, off, s[64:67], 0 offset:20 ; 4-byte Folded Reload
	buffer_load_dword v1, off, s[64:67], 0 offset:24 ; 4-byte Folded Reload
	s_waitcnt lgkmcnt(0)
	v_mad_u64_u32 v[2:3], s[0:1], s8, v255, 0
	s_waitcnt vmcnt(1)
	v_mov_b32_e32 v4, v0
	s_waitcnt vmcnt(0)
	v_mad_u64_u32 v[0:1], s[0:1], s10, v4, 0
	s_mul_i32 s10, s8, 0x1e0
	v_mad_u64_u32 v[4:5], s[0:1], s11, v4, v[1:2]
	v_mad_u64_u32 v[5:6], s[0:1], s9, v255, v[3:4]
	v_mov_b32_e32 v1, v4
	v_lshlrev_b64 v[0:1], 4, v[0:1]
	v_mov_b32_e32 v3, v5
	v_mov_b32_e32 v6, s3
	v_lshlrev_b64 v[2:3], 4, v[2:3]
	v_add_co_u32_e64 v22, s[0:1], s2, v0
	v_addc_co_u32_e64 v23, s[0:1], v6, v1, s[0:1]
	v_add_co_u32_e64 v20, s[0:1], v22, v2
	v_addc_co_u32_e64 v21, s[0:1], v23, v3, s[0:1]
	v_add_co_u32_e64 v45, s[0:1], s12, v254
	global_load_dwordx4 v[0:3], v254, s[12:13]
	global_load_dwordx4 v[4:7], v[20:21], off
	s_movk_i32 s2, 0x1000
	v_addc_co_u32_e64 v84, s[0:1], 0, v44, s[0:1]
	v_add_co_u32_e64 v132, s[0:1], s2, v45
	s_mul_i32 s2, s9, 0x1e0
	s_mul_hi_u32 s3, s8, 0x1e0
	s_add_i32 s11, s3, s2
	v_mov_b32_e32 v48, s11
	v_add_co_u32_e64 v20, s[2:3], s10, v20
	v_addc_co_u32_e64 v21, s[2:3], v21, v48, s[2:3]
	v_mov_b32_e32 v53, s11
	v_add_co_u32_e64 v52, s[2:3], s10, v20
	v_addc_co_u32_e64 v53, s[2:3], v21, v53, s[2:3]
	global_load_dwordx4 v[8:11], v254, s[12:13] offset:480
	global_load_dwordx4 v[12:15], v254, s[12:13] offset:960
	;; [unrolled: 1-line block ×8, first 2 shown]
	v_mov_b32_e32 v54, s11
	global_load_dwordx4 v[48:51], v[20:21], off
	v_add_co_u32_e64 v20, s[2:3], s10, v52
	v_addc_co_u32_e64 v21, s[2:3], v53, v54, s[2:3]
	v_mov_b32_e32 v60, s11
	v_add_co_u32_e64 v63, s[2:3], s10, v20
	v_addc_co_u32_e64 v64, s[2:3], v21, v60, s[2:3]
	v_mov_b32_e32 v65, s11
	global_load_dwordx4 v[52:55], v[52:53], off
	v_mov_b32_e32 v68, s11
	global_load_dwordx4 v[56:59], v[20:21], off
	v_add_co_u32_e64 v20, s[2:3], s10, v63
	v_addc_co_u32_e64 v21, s[2:3], v64, v65, s[2:3]
	v_add_co_u32_e64 v71, s[2:3], s10, v20
	v_addc_co_u32_e64 v72, s[2:3], v21, v68, s[2:3]
	v_mov_b32_e32 v73, s11
	global_load_dwordx4 v[60:63], v[63:64], off
	v_mov_b32_e32 v76, s11
	global_load_dwordx4 v[64:67], v[20:21], off
	v_add_co_u32_e64 v20, s[2:3], s10, v71
	v_addc_co_u32_e64 v21, s[2:3], v72, v73, s[2:3]
	v_add_co_u32_e64 v79, s[2:3], s10, v20
	v_addc_co_u32_e64 v80, s[2:3], v21, v76, s[2:3]
	v_mov_b32_e32 v81, s11
	global_load_dwordx4 v[68:71], v[71:72], off
	v_addc_co_u32_e64 v133, s[0:1], 0, v84, s[0:1]
	global_load_dwordx4 v[72:75], v[20:21], off
	v_add_co_u32_e64 v20, s[2:3], s10, v79
	v_addc_co_u32_e64 v21, s[2:3], v80, v81, s[2:3]
	global_load_dwordx4 v[76:79], v[79:80], off
	v_mov_b32_e32 v84, s11
	global_load_dwordx4 v[80:83], v[20:21], off
	v_add_co_u32_e64 v20, s[0:1], s10, v20
	v_lshlrev_b32_e32 v44, 4, v129
	v_addc_co_u32_e64 v21, s[0:1], v21, v84, s[0:1]
	global_load_dwordx4 v[44:47], v44, s[12:13]
	s_nop 0
	global_load_dwordx4 v[84:87], v[20:21], off
	global_load_dwordx4 v[88:91], v[132:133], off offset:224
	global_load_dwordx4 v[92:95], v[132:133], off offset:704
	v_mov_b32_e32 v96, s11
	v_add_co_u32_e64 v20, s[0:1], s10, v20
	v_addc_co_u32_e64 v21, s[0:1], v21, v96, s[0:1]
	global_load_dwordx4 v[96:99], v[20:21], off
	v_mov_b32_e32 v100, s11
	v_add_co_u32_e64 v20, s[0:1], s10, v20
	v_addc_co_u32_e64 v21, s[0:1], v21, v100, s[0:1]
	global_load_dwordx4 v[100:103], v[20:21], off
	global_load_dwordx4 v[104:107], v[132:133], off offset:1184
	global_load_dwordx4 v[108:111], v[132:133], off offset:1664
	v_mov_b32_e32 v112, s11
	v_add_co_u32_e64 v20, s[0:1], s10, v20
	v_addc_co_u32_e64 v21, s[0:1], v21, v112, s[0:1]
	global_load_dwordx4 v[112:115], v[20:21], off
	v_mov_b32_e32 v116, s11
	v_add_co_u32_e64 v20, s[0:1], s10, v20
	v_addc_co_u32_e64 v21, s[0:1], v21, v116, s[0:1]
	v_mad_u64_u32 v[138:139], s[0:1], s8, v129, 0
	global_load_dwordx4 v[116:119], v[20:21], off
	v_mov_b32_e32 v130, s11
	v_mov_b32_e32 v128, v139
	v_mad_u64_u32 v[139:140], s[0:1], s9, v129, v[128:129]
	v_add_co_u32_e64 v20, s[0:1], s10, v20
	v_addc_co_u32_e64 v21, s[0:1], v21, v130, s[0:1]
	global_load_dwordx4 v[120:123], v[132:133], off offset:2144
	global_load_dwordx4 v[124:127], v[132:133], off offset:2624
	global_load_dwordx4 v[128:131], v[20:21], off
	s_nop 0
	global_load_dwordx4 v[132:135], v[132:133], off offset:3104
	v_lshlrev_b64 v[20:21], 4, v[138:139]
	s_waitcnt vmcnt(31)
	v_mul_f64 v[136:137], v[6:7], v[2:3]
	v_add_co_u32_e64 v20, s[0:1], v22, v20
	v_addc_co_u32_e64 v21, s[0:1], v23, v21, s[0:1]
	global_load_dwordx4 v[20:23], v[20:21], off
	v_mul_f64 v[138:139], v[4:5], v[2:3]
	v_fma_f64 v[2:3], v[4:5], v[0:1], v[136:137]
	v_lshlrev_b32_e32 v136, 4, v253
	v_fma_f64 v[4:5], v[6:7], v[0:1], -v[138:139]
	v_lshl_add_u32 v6, v255, 4, v136
	s_waitcnt vmcnt(23)
	v_mul_f64 v[0:1], v[50:51], v[10:11]
	ds_write_b128 v6, v[2:5]
	v_mul_f64 v[2:3], v[48:49], v[10:11]
	s_waitcnt vmcnt(22)
	v_mul_f64 v[4:5], v[54:55], v[14:15]
	v_mul_f64 v[6:7], v[52:53], v[14:15]
	s_waitcnt vmcnt(21)
	v_mul_f64 v[10:11], v[58:59], v[18:19]
	;; [unrolled: 3-line block ×3, first 2 shown]
	v_mul_f64 v[26:27], v[60:61], v[26:27]
	v_fma_f64 v[0:1], v[48:49], v[8:9], v[0:1]
	v_fma_f64 v[2:3], v[50:51], v[8:9], -v[2:3]
	v_fma_f64 v[4:5], v[52:53], v[12:13], v[4:5]
	v_fma_f64 v[6:7], v[54:55], v[12:13], -v[6:7]
	;; [unrolled: 2-line block ×3, first 2 shown]
	v_fma_f64 v[12:13], v[60:61], v[24:25], v[18:19]
	s_waitcnt vmcnt(19)
	v_mul_f64 v[16:17], v[66:67], v[30:31]
	v_mul_f64 v[18:19], v[64:65], v[30:31]
	v_fma_f64 v[14:15], v[62:63], v[24:25], -v[26:27]
	s_waitcnt vmcnt(18)
	v_mul_f64 v[24:25], v[70:71], v[34:35]
	v_mul_f64 v[26:27], v[68:69], v[34:35]
	s_waitcnt vmcnt(17)
	v_mul_f64 v[30:31], v[74:75], v[38:39]
	v_mul_f64 v[34:35], v[72:73], v[38:39]
	;; [unrolled: 3-line block ×3, first 2 shown]
	v_fma_f64 v[16:17], v[64:65], v[28:29], v[16:17]
	v_fma_f64 v[18:19], v[66:67], v[28:29], -v[18:19]
	v_fma_f64 v[24:25], v[68:69], v[32:33], v[24:25]
	v_fma_f64 v[26:27], v[70:71], v[32:33], -v[26:27]
	;; [unrolled: 2-line block ×3, first 2 shown]
	v_add_u32_e32 v48, v136, v254
	v_fma_f64 v[32:33], v[76:77], v[40:41], v[38:39]
	v_fma_f64 v[34:35], v[78:79], v[40:41], -v[42:43]
	ds_write_b128 v48, v[0:3] offset:480
	ds_write_b128 v48, v[4:7] offset:960
	;; [unrolled: 1-line block ×8, first 2 shown]
	s_waitcnt vmcnt(12)
	v_mul_f64 v[0:1], v[82:83], v[90:91]
	v_mul_f64 v[2:3], v[80:81], v[90:91]
	s_waitcnt vmcnt(11)
	v_mul_f64 v[4:5], v[86:87], v[94:95]
	v_mul_f64 v[6:7], v[84:85], v[94:95]
	;; [unrolled: 3-line block ×4, first 2 shown]
	v_fma_f64 v[0:1], v[80:81], v[88:89], v[0:1]
	v_fma_f64 v[2:3], v[82:83], v[88:89], -v[2:3]
	v_fma_f64 v[4:5], v[84:85], v[92:93], v[4:5]
	v_fma_f64 v[6:7], v[86:87], v[92:93], -v[6:7]
	;; [unrolled: 2-line block ×4, first 2 shown]
	s_waitcnt vmcnt(4)
	v_mul_f64 v[16:17], v[114:115], v[122:123]
	v_mul_f64 v[18:19], v[112:113], v[122:123]
	s_waitcnt vmcnt(3)
	v_mul_f64 v[24:25], v[118:119], v[126:127]
	v_mul_f64 v[26:27], v[116:117], v[126:127]
	;; [unrolled: 3-line block ×3, first 2 shown]
	v_fma_f64 v[16:17], v[112:113], v[120:121], v[16:17]
	s_waitcnt vmcnt(0)
	v_mul_f64 v[32:33], v[22:23], v[46:47]
	v_mul_f64 v[34:35], v[20:21], v[46:47]
	v_fma_f64 v[18:19], v[114:115], v[120:121], -v[18:19]
	v_fma_f64 v[24:25], v[116:117], v[124:125], v[24:25]
	v_fma_f64 v[26:27], v[118:119], v[124:125], -v[26:27]
	v_fma_f64 v[28:29], v[128:129], v[132:133], v[28:29]
	v_fma_f64 v[30:31], v[130:131], v[132:133], -v[30:31]
	v_fma_f64 v[20:21], v[20:21], v[44:45], v[32:33]
	v_fma_f64 v[22:23], v[22:23], v[44:45], -v[34:35]
	ds_write_b128 v48, v[0:3] offset:4320
	ds_write_b128 v48, v[4:7] offset:4800
	;; [unrolled: 1-line block ×8, first 2 shown]
.LBB0_3:
	s_or_b64 exec, exec, s[6:7]
	s_waitcnt vmcnt(0) lgkmcnt(0)
	s_barrier
	s_waitcnt lgkmcnt(0)
                                        ; implicit-def: $vgpr4_vgpr5
                                        ; implicit-def: $vgpr72_vgpr73
                                        ; implicit-def: $vgpr76_vgpr77
                                        ; implicit-def: $vgpr68_vgpr69
                                        ; implicit-def: $vgpr64_vgpr65
                                        ; implicit-def: $vgpr56_vgpr57
                                        ; implicit-def: $vgpr48_vgpr49
                                        ; implicit-def: $vgpr8_vgpr9
                                        ; implicit-def: $vgpr12_vgpr13
                                        ; implicit-def: $vgpr16_vgpr17
                                        ; implicit-def: $vgpr20_vgpr21
                                        ; implicit-def: $vgpr24_vgpr25
                                        ; implicit-def: $vgpr28_vgpr29
                                        ; implicit-def: $vgpr32_vgpr33
                                        ; implicit-def: $vgpr36_vgpr37
                                        ; implicit-def: $vgpr40_vgpr41
                                        ; implicit-def: $vgpr44_vgpr45
	s_and_saveexec_b64 s[0:1], vcc
	s_cbranch_execz .LBB0_5
; %bb.4:
	v_lshl_add_u32 v0, v253, 4, v254
	ds_read_b128 v[4:7], v0
	ds_read_b128 v[72:75], v0 offset:480
	ds_read_b128 v[76:79], v0 offset:960
	;; [unrolled: 1-line block ×16, first 2 shown]
.LBB0_5:
	s_or_b64 exec, exec, s[0:1]
	s_waitcnt lgkmcnt(0)
	v_add_f64 v[120:121], v[74:75], -v[46:47]
	s_mov_b32 s16, 0x5d8e7cdc
	s_mov_b32 s17, 0xbfd71e95
	v_add_f64 v[102:103], v[72:73], v[44:45]
	v_add_f64 v[106:107], v[72:73], -v[44:45]
	v_add_f64 v[142:143], v[78:79], -v[42:43]
	s_mov_b32 s0, 0x370991
	s_mov_b32 s10, 0x2a9d6da3
	v_mul_f64 v[92:93], v[120:121], s[16:17]
	s_mov_b32 s1, 0x3fedd6d0
	s_mov_b32 s11, 0xbfe58eea
	v_add_f64 v[104:105], v[74:75], v[46:47]
	v_mul_f64 v[94:95], v[106:107], s[16:17]
	v_add_f64 v[116:117], v[76:77], v[40:41]
	v_add_f64 v[136:137], v[76:77], -v[40:41]
	v_mul_f64 v[100:101], v[142:143], s[10:11]
	v_fma_f64 v[0:1], v[102:103], s[0:1], v[92:93]
	s_mov_b32 s2, 0x75d4884
	s_mov_b32 s3, 0x3fe7a5f6
	v_mul_f64 v[96:97], v[120:121], s[10:11]
	v_fma_f64 v[2:3], v[104:105], s[0:1], -v[94:95]
	v_add_f64 v[118:119], v[78:79], v[42:43]
	v_mul_f64 v[108:109], v[136:137], s[10:11]
	v_fma_f64 v[80:81], v[116:117], s[2:3], v[100:101]
	v_add_f64 v[0:1], v[4:5], v[0:1]
	s_mov_b32 s26, 0xeb564b22
	s_mov_b32 s27, 0xbfefdd0d
	v_mul_f64 v[98:99], v[106:107], s[10:11]
	v_add_f64 v[2:3], v[6:7], v[2:3]
	v_fma_f64 v[52:53], v[102:103], s[2:3], v[96:97]
	v_mul_f64 v[112:113], v[142:143], s[26:27]
	s_mov_b32 s20, 0x7c9e640b
	v_add_f64 v[0:1], v[80:81], v[0:1]
	v_fma_f64 v[80:81], v[118:119], s[2:3], -v[108:109]
	s_mov_b32 s18, 0x3259b75e
	s_mov_b32 s21, 0xbfeca52d
	;; [unrolled: 1-line block ×3, first 2 shown]
	v_add_f64 v[52:53], v[4:5], v[52:53]
	v_fma_f64 v[54:55], v[104:105], s[2:3], -v[98:99]
	v_mul_f64 v[110:111], v[120:121], s[20:21]
	v_mul_f64 v[124:125], v[136:137], s[26:27]
	v_add_f64 v[2:3], v[80:81], v[2:3]
	v_fma_f64 v[80:81], v[116:117], s[18:19], v[112:113]
	s_load_dwordx2 s[6:7], s[4:5], 0x20
	s_load_dwordx2 s[8:9], s[4:5], 0x8
	s_mov_b32 s4, 0x2b2883cd
	s_mov_b32 s28, 0x6c9a05f6
	;; [unrolled: 1-line block ×4, first 2 shown]
	v_add_f64 v[54:55], v[6:7], v[54:55]
	v_mul_f64 v[114:115], v[106:107], s[20:21]
	v_fma_f64 v[60:61], v[102:103], s[4:5], v[110:111]
	v_add_f64 v[52:53], v[80:81], v[52:53]
	v_fma_f64 v[80:81], v[118:119], s[18:19], -v[124:125]
	v_mul_f64 v[128:129], v[142:143], s[28:29]
	s_mov_b32 s22, 0x6ed5f1bb
	s_mov_b32 s23, 0xbfe348c8
	v_mul_f64 v[132:133], v[136:137], s[28:29]
	v_fma_f64 v[62:63], v[104:105], s[4:5], -v[114:115]
	v_add_f64 v[60:61], v[4:5], v[60:61]
	v_add_f64 v[162:163], v[70:71], -v[38:39]
	v_add_f64 v[54:55], v[80:81], v[54:55]
	v_fma_f64 v[80:81], v[116:117], s[22:23], v[128:129]
	v_add_f64 v[134:135], v[68:69], v[36:37]
	v_add_f64 v[152:153], v[68:69], -v[36:37]
	v_add_f64 v[138:139], v[70:71], v[38:39]
	v_add_f64 v[62:63], v[6:7], v[62:63]
	s_mov_b32 s34, 0xacd6c6b4
	v_mul_f64 v[122:123], v[162:163], s[20:21]
	v_mul_f64 v[130:131], v[162:163], s[28:29]
	v_add_f64 v[60:61], v[80:81], v[60:61]
	v_fma_f64 v[80:81], v[118:119], s[22:23], -v[132:133]
	v_mul_f64 v[126:127], v[152:153], s[20:21]
	v_mul_f64 v[140:141], v[152:153], s[28:29]
	s_mov_b32 s35, 0x3fc7851a
	v_mul_f64 v[154:155], v[162:163], s[34:35]
	s_mov_b32 s24, 0x7faef3
	s_mov_b32 s25, 0xbfef7484
	v_mul_f64 v[164:165], v[152:153], s[34:35]
	v_add_f64 v[62:63], v[80:81], v[62:63]
	v_fma_f64 v[80:81], v[134:135], s[4:5], v[122:123]
	v_add_f64 v[182:183], v[66:67], -v[34:35]
	v_add_f64 v[156:157], v[64:65], v[32:33]
	v_add_f64 v[172:173], v[64:65], -v[32:33]
	v_add_f64 v[158:159], v[66:67], v[34:35]
	s_mov_b32 s39, 0xbfc7851a
	s_mov_b32 s38, s34
	s_mov_b32 s42, 0x923c349f
	v_add_f64 v[0:1], v[80:81], v[0:1]
	v_fma_f64 v[80:81], v[138:139], s[4:5], -v[126:127]
	v_mul_f64 v[144:145], v[182:183], s[26:27]
	v_mul_f64 v[150:151], v[172:173], s[26:27]
	;; [unrolled: 1-line block ×4, first 2 shown]
	s_mov_b32 s43, 0x3feec746
	v_mul_f64 v[180:181], v[182:183], s[42:43]
	s_mov_b32 s30, 0xc61f0d01
	v_add_f64 v[2:3], v[80:81], v[2:3]
	v_fma_f64 v[80:81], v[134:135], s[22:23], v[130:131]
	s_mov_b32 s31, 0xbfd183b1
	v_mul_f64 v[184:185], v[172:173], s[42:43]
	v_add_f64 v[198:199], v[58:59], -v[30:31]
	s_mov_b32 s47, 0xbfeec746
	s_mov_b32 s46, s42
	v_add_f64 v[176:177], v[56:57], v[28:29]
	v_add_f64 v[178:179], v[58:59], v[30:31]
	;; [unrolled: 1-line block ×3, first 2 shown]
	v_fma_f64 v[80:81], v[138:139], s[22:23], -v[140:141]
	s_mov_b32 s48, 0x4363dd80
	v_mul_f64 v[168:169], v[198:199], s[46:47]
	s_mov_b32 s49, 0x3fe0d888
	v_mul_f64 v[174:175], v[198:199], s[48:49]
	s_mov_b32 s36, 0x910ea3b9
	s_mov_b32 s37, 0xbfeb34fa
	;; [unrolled: 1-line block ×3, first 2 shown]
	v_add_f64 v[54:55], v[80:81], v[54:55]
	v_fma_f64 v[80:81], v[134:135], s[24:25], v[154:155]
	v_fma_f64 v[82:83], v[176:177], s[30:31], v[168:169]
	s_mov_b32 s40, s10
	v_mul_f64 v[192:193], v[198:199], s[40:41]
	v_add_f64 v[229:230], v[50:51], -v[26:27]
	v_add_f64 v[194:195], v[48:49], v[24:25]
	v_add_f64 v[212:213], v[48:49], -v[24:25]
	v_add_f64 v[196:197], v[50:51], v[26:27]
	v_add_f64 v[60:61], v[80:81], v[60:61]
	v_fma_f64 v[80:81], v[138:139], s[24:25], -v[164:165]
	v_add_f64 v[245:246], v[10:11], -v[22:23]
	s_mov_b32 s51, 0xbfe0d888
	v_mul_f64 v[188:189], v[229:230], s[28:29]
	v_mul_f64 v[208:209], v[229:230], s[16:17]
	;; [unrolled: 1-line block ×5, first 2 shown]
	v_add_f64 v[62:63], v[80:81], v[62:63]
	v_fma_f64 v[80:81], v[156:157], s[18:19], v[144:145]
	s_mov_b32 s50, s48
	v_add_f64 v[214:215], v[8:9], v[20:21]
	v_add_f64 v[237:238], v[8:9], -v[20:21]
	v_mul_f64 v[202:203], v[245:246], s[50:51]
	v_add_f64 v[216:217], v[10:11], v[22:23]
	s_mov_b32 s53, 0x3feca52d
	s_mov_b32 s52, s20
	v_add_f64 v[0:1], v[80:81], v[0:1]
	v_fma_f64 v[80:81], v[158:159], s[18:19], -v[150:151]
	v_mul_f64 v[210:211], v[245:246], s[52:53]
	v_mul_f64 v[206:207], v[237:238], s[50:51]
	;; [unrolled: 1-line block ×5, first 2 shown]
	v_add_f64 v[239:240], v[14:15], -v[18:19]
	v_add_f64 v[0:1], v[82:83], v[0:1]
	v_add_f64 v[80:81], v[80:81], v[2:3]
	v_fma_f64 v[2:3], v[156:157], s[24:25], v[160:161]
	v_add_f64 v[231:232], v[12:13], v[16:17]
	v_add_f64 v[251:252], v[12:13], -v[16:17]
	v_add_f64 v[235:236], v[14:15], v[18:19]
	s_mov_b32 s55, 0x3fd71e95
	v_mul_f64 v[218:219], v[239:240], s[38:39]
	s_mov_b32 s54, s16
	v_mul_f64 v[233:234], v[239:240], s[54:55]
	v_add_f64 v[52:53], v[2:3], v[52:53]
	v_fma_f64 v[2:3], v[158:159], s[24:25], -v[166:167]
	v_mul_f64 v[225:226], v[251:252], s[38:39]
	v_mul_f64 v[243:244], v[251:252], s[54:55]
	;; [unrolled: 1-line block ×4, first 2 shown]
	v_add_f64 v[54:55], v[2:3], v[54:55]
	v_fma_f64 v[2:3], v[156:157], s[30:31], v[180:181]
	v_add_f64 v[60:61], v[2:3], v[60:61]
	v_fma_f64 v[2:3], v[158:159], s[30:31], -v[184:185]
	v_add_f64 v[62:63], v[2:3], v[62:63]
	v_add_f64 v[2:3], v[56:57], -v[28:29]
	v_mul_f64 v[170:171], v[2:3], s[46:47]
	v_mul_f64 v[186:187], v[2:3], s[48:49]
	;; [unrolled: 1-line block ×3, first 2 shown]
	v_fma_f64 v[82:83], v[178:179], s[30:31], -v[170:171]
	v_add_f64 v[80:81], v[82:83], v[80:81]
	v_fma_f64 v[82:83], v[176:177], s[36:37], v[174:175]
	v_add_f64 v[52:53], v[82:83], v[52:53]
	v_fma_f64 v[82:83], v[178:179], s[36:37], -v[186:187]
	v_add_f64 v[54:55], v[82:83], v[54:55]
	v_fma_f64 v[82:83], v[176:177], s[2:3], v[192:193]
	v_add_f64 v[60:61], v[82:83], v[60:61]
	;; [unrolled: 4-line block ×3, first 2 shown]
	v_fma_f64 v[0:1], v[196:197], s[22:23], -v[190:191]
	v_add_f64 v[80:81], v[0:1], v[80:81]
	v_mul_f64 v[0:1], v[229:230], s[42:43]
	v_fma_f64 v[84:85], v[194:195], s[30:31], v[0:1]
	v_add_f64 v[52:53], v[84:85], v[52:53]
	v_fma_f64 v[84:85], v[196:197], s[30:31], -v[204:205]
	v_add_f64 v[54:55], v[84:85], v[54:55]
	v_fma_f64 v[84:85], v[194:195], s[0:1], v[208:209]
	v_add_f64 v[60:61], v[84:85], v[60:61]
	v_fma_f64 v[84:85], v[196:197], s[0:1], -v[227:228]
	v_add_f64 v[62:63], v[84:85], v[62:63]
	;; [unrolled: 4-line block ×6, first 2 shown]
	v_fma_f64 v[60:61], v[231:232], s[0:1], v[233:234]
	buffer_store_dword v88, off, s[64:67], 0 ; 4-byte Folded Spill
	s_nop 0
	buffer_store_dword v89, off, s[64:67], 0 offset:4 ; 4-byte Folded Spill
	buffer_store_dword v90, off, s[64:67], 0 offset:8 ; 4-byte Folded Spill
	;; [unrolled: 1-line block ×3, first 2 shown]
	v_add_f64 v[60:61], v[60:61], v[52:53]
	v_fma_f64 v[52:53], v[235:236], s[0:1], -v[243:244]
	s_waitcnt vmcnt(0) lgkmcnt(0)
	s_barrier
	v_add_f64 v[62:63], v[52:53], v[54:55]
	v_fma_f64 v[52:53], v[231:232], s[36:37], v[247:248]
	v_fma_f64 v[54:55], v[235:236], s[36:37], -v[249:250]
	v_add_f64 v[52:53], v[52:53], v[84:85]
	v_add_f64 v[54:55], v[54:55], v[86:87]
	s_and_saveexec_b64 s[44:45], vcc
	s_cbranch_execz .LBB0_7
; %bb.6:
	v_mul_f64 v[84:85], v[104:105], s[24:25]
	v_mul_f64 v[86:87], v[118:119], s[0:1]
	;; [unrolled: 1-line block ×4, first 2 shown]
	buffer_store_dword v92, off, s[64:67], 0 offset:28 ; 4-byte Folded Spill
	s_nop 0
	buffer_store_dword v93, off, s[64:67], 0 offset:32 ; 4-byte Folded Spill
	buffer_store_dword v94, off, s[64:67], 0 offset:60 ; 4-byte Folded Spill
	s_nop 0
	buffer_store_dword v95, off, s[64:67], 0 offset:64 ; 4-byte Folded Spill
	;; [unrolled: 3-line block ×4, first 2 shown]
	v_fma_f64 v[80:81], v[106:107], s[34:35], v[84:85]
	v_fma_f64 v[82:83], v[136:137], s[16:17], v[86:87]
	buffer_store_dword v100, off, s[64:67], 0 offset:76 ; 4-byte Folded Spill
	s_nop 0
	buffer_store_dword v101, off, s[64:67], 0 offset:80 ; 4-byte Folded Spill
	v_fma_f64 v[92:93], v[116:117], s[0:1], v[90:91]
	v_fma_f64 v[84:85], v[106:107], s[38:39], v[84:85]
	s_mov_b32 s57, 0x3fe9895b
	s_mov_b32 s56, s28
	buffer_store_dword v108, off, s[64:67], 0 offset:92 ; 4-byte Folded Spill
	s_nop 0
	buffer_store_dword v109, off, s[64:67], 0 offset:96 ; 4-byte Folded Spill
	v_add_f64 v[80:81], v[6:7], v[80:81]
	v_fma_f64 v[86:87], v[136:137], s[54:55], v[86:87]
	buffer_store_dword v110, off, s[64:67], 0 offset:180 ; 4-byte Folded Spill
	s_nop 0
	buffer_store_dword v111, off, s[64:67], 0 offset:184 ; 4-byte Folded Spill
	buffer_store_dword v112, off, s[64:67], 0 offset:116 ; 4-byte Folded Spill
	s_nop 0
	buffer_store_dword v113, off, s[64:67], 0 offset:120 ; 4-byte Folded Spill
	v_add_f64 v[84:85], v[6:7], v[84:85]
	buffer_store_dword v114, off, s[64:67], 0 offset:212 ; 4-byte Folded Spill
	s_nop 0
	buffer_store_dword v115, off, s[64:67], 0 offset:216 ; 4-byte Folded Spill
	buffer_store_dword v122, off, s[64:67], 0 offset:100 ; 4-byte Folded Spill
	s_nop 0
	buffer_store_dword v123, off, s[64:67], 0 offset:104 ; 4-byte Folded Spill
	;; [unrolled: 3-line block ×3, first 2 shown]
	v_add_f64 v[80:81], v[82:83], v[80:81]
	v_fma_f64 v[82:83], v[102:103], s[24:25], v[88:89]
	s_mov_b32 s59, 0x3fefdd0d
	s_mov_b32 s58, s26
	v_add_f64 v[84:85], v[86:87], v[84:85]
	v_fma_f64 v[86:87], v[102:103], s[24:25], -v[88:89]
	v_fma_f64 v[88:89], v[116:117], s[0:1], -v[90:91]
	buffer_store_dword v126, off, s[64:67], 0 offset:132 ; 4-byte Folded Spill
	s_nop 0
	buffer_store_dword v127, off, s[64:67], 0 offset:136 ; 4-byte Folded Spill
	buffer_store_dword v128, off, s[64:67], 0 offset:196 ; 4-byte Folded Spill
	s_nop 0
	buffer_store_dword v129, off, s[64:67], 0 offset:200 ; 4-byte Folded Spill
	v_add_f64 v[82:83], v[4:5], v[82:83]
	v_mul_f64 v[126:127], v[235:236], s[18:19]
	v_mul_f64 v[128:129], v[239:240], s[58:59]
	buffer_store_dword v130, off, s[64:67], 0 offset:228 ; 4-byte Folded Spill
	s_nop 0
	buffer_store_dword v131, off, s[64:67], 0 offset:232 ; 4-byte Folded Spill
	v_add_f64 v[86:87], v[4:5], v[86:87]
	buffer_store_dword v132, off, s[64:67], 0 offset:244 ; 4-byte Folded Spill
	s_nop 0
	buffer_store_dword v133, off, s[64:67], 0 offset:248 ; 4-byte Folded Spill
	buffer_store_dword v140, off, s[64:67], 0 offset:236 ; 4-byte Folded Spill
	s_nop 0
	buffer_store_dword v141, off, s[64:67], 0 offset:240 ; 4-byte Folded Spill
	;; [unrolled: 3-line block ×3, first 2 shown]
	v_add_f64 v[82:83], v[92:93], v[82:83]
	v_mul_f64 v[92:93], v[138:139], s[36:37]
	v_fma_f64 v[90:91], v[231:232], s[18:19], -v[128:129]
	v_mul_f64 v[140:141], v[235:236], s[30:31]
	v_add_f64 v[86:87], v[88:89], v[86:87]
	v_mul_f64 v[144:145], v[239:240], s[46:47]
	v_add_f64 v[72:73], v[4:5], v[72:73]
	v_add_f64 v[74:75], v[6:7], v[74:75]
	v_mul_f64 v[146:147], v[235:236], s[4:5]
	v_fma_f64 v[94:95], v[152:153], s[48:49], v[92:93]
	v_fma_f64 v[88:89], v[152:153], s[50:51], v[92:93]
	v_mul_f64 v[92:93], v[104:105], s[36:37]
	v_mul_f64 v[148:149], v[239:240], s[52:53]
	v_add_f64 v[76:77], v[72:73], v[76:77]
	v_add_f64 v[78:79], v[74:75], v[78:79]
	;; [unrolled: 1-line block ×3, first 2 shown]
	v_mul_f64 v[94:95], v[162:163], s[50:51]
	v_add_f64 v[84:85], v[88:89], v[84:85]
	v_add_f64 v[76:77], v[76:77], v[68:69]
	;; [unrolled: 1-line block ×3, first 2 shown]
	v_fma_f64 v[96:97], v[134:135], s[36:37], v[94:95]
	v_fma_f64 v[88:89], v[134:135], s[36:37], -v[94:95]
	v_mul_f64 v[94:95], v[118:119], s[4:5]
	v_add_f64 v[76:77], v[76:77], v[64:65]
	v_add_f64 v[78:79], v[78:79], v[66:67]
	;; [unrolled: 1-line block ×3, first 2 shown]
	v_mul_f64 v[96:97], v[158:159], s[2:3]
	v_add_f64 v[86:87], v[88:89], v[86:87]
	v_add_f64 v[76:77], v[76:77], v[56:57]
	v_add_f64 v[78:79], v[78:79], v[58:59]
	v_fma_f64 v[98:99], v[172:173], s[10:11], v[96:97]
	v_fma_f64 v[88:89], v[172:173], s[40:41], v[96:97]
	v_mul_f64 v[96:97], v[138:139], s[18:19]
	v_add_f64 v[76:77], v[76:77], v[48:49]
	v_mul_f64 v[48:49], v[104:105], s[18:19]
	v_add_f64 v[50:51], v[78:79], v[50:51]
	v_add_f64 v[80:81], v[98:99], v[80:81]
	v_mul_f64 v[98:99], v[182:183], s[40:41]
	v_add_f64 v[84:85], v[88:89], v[84:85]
	v_add_f64 v[8:9], v[76:77], v[8:9]
	v_fma_f64 v[78:79], v[106:107], s[58:59], v[48:49]
	v_fma_f64 v[48:49], v[106:107], s[26:27], v[48:49]
	v_add_f64 v[10:11], v[50:51], v[10:11]
	v_fma_f64 v[100:101], v[156:157], s[2:3], v[98:99]
	v_add_f64 v[8:9], v[8:9], v[12:13]
	v_add_f64 v[78:79], v[6:7], v[78:79]
	;; [unrolled: 1-line block ×5, first 2 shown]
	v_mul_f64 v[100:101], v[178:179], s[22:23]
	v_add_f64 v[8:9], v[8:9], v[16:17]
	v_add_f64 v[10:11], v[10:11], v[18:19]
	v_fma_f64 v[108:109], v[2:3], s[56:57], v[100:101]
	v_fma_f64 v[88:89], v[2:3], s[28:29], v[100:101]
	v_mul_f64 v[100:101], v[178:179], s[0:1]
	v_add_f64 v[8:9], v[8:9], v[20:21]
	v_add_f64 v[10:11], v[10:11], v[22:23]
	;; [unrolled: 1-line block ×3, first 2 shown]
	v_mul_f64 v[108:109], v[198:199], s[28:29]
	v_add_f64 v[84:85], v[88:89], v[84:85]
	v_add_f64 v[8:9], v[8:9], v[24:25]
	;; [unrolled: 1-line block ×3, first 2 shown]
	v_fma_f64 v[110:111], v[176:177], s[22:23], v[108:109]
	v_add_f64 v[8:9], v[8:9], v[28:29]
	v_add_f64 v[10:11], v[10:11], v[30:31]
	;; [unrolled: 1-line block ×3, first 2 shown]
	v_mul_f64 v[110:111], v[196:197], s[4:5]
	v_add_f64 v[8:9], v[8:9], v[32:33]
	v_add_f64 v[10:11], v[10:11], v[34:35]
	v_fma_f64 v[112:113], v[212:213], s[20:21], v[110:111]
	v_fma_f64 v[88:89], v[212:213], s[52:53], v[110:111]
	v_mul_f64 v[110:111], v[216:217], s[2:3]
	v_add_f64 v[10:11], v[10:11], v[38:39]
	v_add_f64 v[8:9], v[8:9], v[36:37]
	v_add_f64 v[80:81], v[112:113], v[80:81]
	v_mul_f64 v[112:113], v[229:230], s[52:53]
	v_add_f64 v[84:85], v[88:89], v[84:85]
	v_add_f64 v[24:25], v[10:11], v[42:43]
	;; [unrolled: 1-line block ×3, first 2 shown]
	v_fma_f64 v[114:115], v[194:195], s[4:5], v[112:113]
	v_add_f64 v[82:83], v[114:115], v[82:83]
	v_mul_f64 v[114:115], v[216:217], s[30:31]
	v_fma_f64 v[88:89], v[237:238], s[46:47], v[114:115]
	v_fma_f64 v[122:123], v[237:238], s[42:43], v[114:115]
	v_mul_f64 v[114:115], v[142:143], s[52:53]
	v_add_f64 v[84:85], v[88:89], v[84:85]
	v_fma_f64 v[88:89], v[156:157], s[2:3], -v[98:99]
	v_add_f64 v[80:81], v[122:123], v[80:81]
	v_mul_f64 v[122:123], v[245:246], s[46:47]
	v_mul_f64 v[98:99], v[158:159], s[22:23]
	v_add_f64 v[86:87], v[88:89], v[86:87]
	v_fma_f64 v[88:89], v[176:177], s[22:23], -v[108:109]
	v_mul_f64 v[108:109], v[196:197], s[24:25]
	v_fma_f64 v[124:125], v[214:215], s[30:31], v[122:123]
	v_add_f64 v[86:87], v[88:89], v[86:87]
	v_fma_f64 v[88:89], v[194:195], s[4:5], -v[112:113]
	v_mul_f64 v[112:113], v[120:121], s[50:51]
	v_add_f64 v[124:125], v[124:125], v[82:83]
	v_fma_f64 v[82:83], v[251:252], s[26:27], v[126:127]
	v_add_f64 v[86:87], v[88:89], v[86:87]
	v_fma_f64 v[88:89], v[214:215], s[30:31], -v[122:123]
	v_fma_f64 v[122:123], v[116:117], s[4:5], v[114:115]
	v_add_f64 v[82:83], v[82:83], v[80:81]
	v_fma_f64 v[80:81], v[231:232], s[18:19], v[128:129]
	v_add_f64 v[88:89], v[88:89], v[86:87]
	;; [unrolled: 2-line block ×3, first 2 shown]
	v_add_f64 v[86:87], v[86:87], v[84:85]
	v_add_f64 v[84:85], v[90:91], v[88:89]
	v_fma_f64 v[88:89], v[106:107], s[48:49], v[92:93]
	v_fma_f64 v[90:91], v[136:137], s[20:21], v[94:95]
	;; [unrolled: 1-line block ×4, first 2 shown]
	v_add_f64 v[88:89], v[6:7], v[88:89]
	v_add_f64 v[92:93], v[6:7], v[92:93]
	;; [unrolled: 1-line block ×3, first 2 shown]
	v_fma_f64 v[90:91], v[152:153], s[58:59], v[96:97]
	v_add_f64 v[92:93], v[94:95], v[92:93]
	v_fma_f64 v[94:95], v[152:153], s[26:27], v[96:97]
	v_fma_f64 v[96:97], v[116:117], s[4:5], -v[114:115]
	v_mul_f64 v[114:115], v[216:217], s[24:25]
	v_add_f64 v[88:89], v[90:91], v[88:89]
	v_fma_f64 v[90:91], v[172:173], s[28:29], v[98:99]
	v_add_f64 v[92:93], v[94:95], v[92:93]
	v_fma_f64 v[94:95], v[172:173], s[56:57], v[98:99]
	v_fma_f64 v[98:99], v[231:232], s[30:31], -v[144:145]
	v_add_f64 v[88:89], v[90:91], v[88:89]
	v_fma_f64 v[90:91], v[2:3], s[54:55], v[100:101]
	v_add_f64 v[92:93], v[94:95], v[92:93]
	v_fma_f64 v[94:95], v[2:3], s[16:17], v[100:101]
	v_mul_f64 v[100:101], v[138:139], s[0:1]
	v_add_f64 v[88:89], v[90:91], v[88:89]
	v_fma_f64 v[90:91], v[212:213], s[34:35], v[108:109]
	v_add_f64 v[92:93], v[94:95], v[92:93]
	v_fma_f64 v[94:95], v[212:213], s[38:39], v[108:109]
	v_mul_f64 v[108:109], v[158:159], s[36:37]
	;; [unrolled: 5-line block ×3, first 2 shown]
	v_add_f64 v[88:89], v[90:91], v[88:89]
	v_fma_f64 v[90:91], v[102:103], s[36:37], v[112:113]
	v_add_f64 v[92:93], v[94:95], v[92:93]
	v_fma_f64 v[94:95], v[102:103], s[36:37], -v[112:113]
	v_mul_f64 v[112:113], v[196:197], s[2:3]
	v_add_f64 v[90:91], v[4:5], v[90:91]
	v_add_f64 v[94:95], v[4:5], v[94:95]
	;; [unrolled: 1-line block ×3, first 2 shown]
	v_mul_f64 v[122:123], v[162:163], s[26:27]
	v_add_f64 v[94:95], v[96:97], v[94:95]
	v_fma_f64 v[124:125], v[134:135], s[18:19], v[122:123]
	v_fma_f64 v[96:97], v[134:135], s[18:19], -v[122:123]
	v_mul_f64 v[122:123], v[120:121], s[28:29]
	v_add_f64 v[90:91], v[124:125], v[90:91]
	v_mul_f64 v[124:125], v[182:183], s[56:57]
	v_add_f64 v[94:95], v[96:97], v[94:95]
	v_fma_f64 v[126:127], v[156:157], s[22:23], v[124:125]
	v_fma_f64 v[96:97], v[156:157], s[22:23], -v[124:125]
	v_mul_f64 v[124:125], v[142:143], s[42:43]
	v_add_f64 v[90:91], v[126:127], v[90:91]
	v_mul_f64 v[126:127], v[198:199], s[16:17]
	v_add_f64 v[94:95], v[96:97], v[94:95]
	v_fma_f64 v[128:129], v[176:177], s[0:1], v[126:127]
	v_fma_f64 v[96:97], v[176:177], s[0:1], -v[126:127]
	v_fma_f64 v[126:127], v[116:117], s[30:31], v[124:125]
	v_add_f64 v[90:91], v[128:129], v[90:91]
	v_mul_f64 v[128:129], v[229:230], s[38:39]
	v_add_f64 v[94:95], v[96:97], v[94:95]
	v_fma_f64 v[130:131], v[194:195], s[24:25], v[128:129]
	v_fma_f64 v[96:97], v[194:195], s[24:25], -v[128:129]
	v_add_f64 v[90:91], v[130:131], v[90:91]
	v_mul_f64 v[130:131], v[245:246], s[40:41]
	v_add_f64 v[94:95], v[96:97], v[94:95]
	v_fma_f64 v[96:97], v[214:215], s[2:3], -v[130:131]
	v_fma_f64 v[132:133], v[214:215], s[2:3], v[130:131]
	v_add_f64 v[96:97], v[96:97], v[94:95]
	v_fma_f64 v[94:95], v[251:252], s[46:47], v[140:141]
	v_add_f64 v[132:133], v[132:133], v[90:91]
	;; [unrolled: 2-line block ×3, first 2 shown]
	v_add_f64 v[92:93], v[98:99], v[96:97]
	v_mul_f64 v[96:97], v[104:105], s[22:23]
	v_mul_f64 v[98:99], v[118:119], s[30:31]
	v_add_f64 v[90:91], v[90:91], v[88:89]
	v_fma_f64 v[88:89], v[231:232], s[30:31], v[144:145]
	v_fma_f64 v[72:73], v[106:107], s[56:57], v[96:97]
	;; [unrolled: 1-line block ×5, first 2 shown]
	v_fma_f64 v[96:97], v[116:117], s[30:31], -v[124:125]
	v_add_f64 v[88:89], v[88:89], v[132:133]
	v_fma_f64 v[98:99], v[231:232], s[4:5], -v[148:149]
	v_mul_f64 v[124:125], v[142:143], s[48:49]
	v_add_f64 v[72:73], v[6:7], v[72:73]
	v_add_f64 v[68:69], v[6:7], v[68:69]
	;; [unrolled: 1-line block ×3, first 2 shown]
	v_fma_f64 v[74:75], v[152:153], s[54:55], v[100:101]
	v_add_f64 v[68:69], v[70:71], v[68:69]
	v_fma_f64 v[70:71], v[152:153], s[16:17], v[100:101]
	v_mul_f64 v[100:101], v[138:139], s[2:3]
	v_add_f64 v[72:73], v[74:75], v[72:73]
	v_fma_f64 v[74:75], v[172:173], s[48:49], v[108:109]
	v_add_f64 v[68:69], v[70:71], v[68:69]
	v_fma_f64 v[70:71], v[172:173], s[50:51], v[108:109]
	v_mul_f64 v[108:109], v[158:159], s[4:5]
	v_add_f64 v[72:73], v[74:75], v[72:73]
	;; [unrolled: 5-line block ×5, first 2 shown]
	v_fma_f64 v[74:75], v[102:103], s[22:23], v[122:123]
	v_add_f64 v[68:69], v[70:71], v[68:69]
	v_fma_f64 v[70:71], v[102:103], s[22:23], -v[122:123]
	v_mul_f64 v[122:123], v[120:121], s[46:47]
	v_add_f64 v[74:75], v[4:5], v[74:75]
	v_add_f64 v[70:71], v[4:5], v[70:71]
	;; [unrolled: 1-line block ×3, first 2 shown]
	v_mul_f64 v[126:127], v[162:163], s[16:17]
	v_add_f64 v[70:71], v[96:97], v[70:71]
	v_fma_f64 v[128:129], v[134:135], s[0:1], v[126:127]
	v_fma_f64 v[96:97], v[134:135], s[0:1], -v[126:127]
	v_fma_f64 v[126:127], v[116:117], s[36:37], v[124:125]
	v_add_f64 v[74:75], v[128:129], v[74:75]
	v_mul_f64 v[128:129], v[182:183], s[50:51]
	v_add_f64 v[70:71], v[96:97], v[70:71]
	v_fma_f64 v[130:131], v[156:157], s[36:37], v[128:129]
	v_fma_f64 v[96:97], v[156:157], s[36:37], -v[128:129]
	v_add_f64 v[74:75], v[130:131], v[74:75]
	v_mul_f64 v[130:131], v[198:199], s[58:59]
	v_add_f64 v[70:71], v[96:97], v[70:71]
	v_fma_f64 v[132:133], v[176:177], s[18:19], v[130:131]
	v_fma_f64 v[96:97], v[176:177], s[18:19], -v[130:131]
	;; [unrolled: 5-line block ×3, first 2 shown]
	v_add_f64 v[74:75], v[140:141], v[74:75]
	v_mul_f64 v[140:141], v[245:246], s[38:39]
	v_add_f64 v[70:71], v[96:97], v[70:71]
	v_fma_f64 v[96:97], v[214:215], s[24:25], -v[140:141]
	v_fma_f64 v[144:145], v[214:215], s[24:25], v[140:141]
	v_add_f64 v[96:97], v[96:97], v[70:71]
	v_fma_f64 v[70:71], v[251:252], s[52:53], v[146:147]
	v_add_f64 v[144:145], v[144:145], v[74:75]
	v_fma_f64 v[74:75], v[251:252], s[20:21], v[146:147]
	v_mul_f64 v[146:147], v[235:236], s[22:23]
	v_add_f64 v[70:71], v[70:71], v[68:69]
	v_add_f64 v[68:69], v[98:99], v[96:97]
	v_mul_f64 v[96:97], v[104:105], s[30:31]
	v_mul_f64 v[98:99], v[118:119], s[36:37]
	v_add_f64 v[74:75], v[74:75], v[72:73]
	v_fma_f64 v[72:73], v[231:232], s[4:5], v[148:149]
	v_mul_f64 v[148:149], v[239:240], s[28:29]
	v_fma_f64 v[64:65], v[106:107], s[42:43], v[96:97]
	v_fma_f64 v[66:67], v[136:137], s[50:51], v[98:99]
	;; [unrolled: 1-line block ×4, first 2 shown]
	v_fma_f64 v[96:97], v[116:117], s[36:37], -v[124:125]
	v_fma_f64 v[98:99], v[231:232], s[22:23], -v[148:149]
	v_add_f64 v[72:73], v[72:73], v[144:145]
	v_mul_f64 v[106:107], v[198:199], s[20:21]
	v_add_f64 v[64:65], v[6:7], v[64:65]
	v_add_f64 v[56:57], v[6:7], v[56:57]
	;; [unrolled: 1-line block ×3, first 2 shown]
	v_fma_f64 v[66:67], v[152:153], s[10:11], v[100:101]
	v_add_f64 v[56:57], v[58:59], v[56:57]
	v_fma_f64 v[58:59], v[152:153], s[40:41], v[100:101]
	v_add_f64 v[64:65], v[66:67], v[64:65]
	;; [unrolled: 2-line block ×11, first 2 shown]
	v_fma_f64 v[58:59], v[102:103], s[30:31], -v[122:123]
	v_add_f64 v[66:67], v[4:5], v[66:67]
	v_add_f64 v[58:59], v[4:5], v[58:59]
	;; [unrolled: 1-line block ×3, first 2 shown]
	v_mul_f64 v[126:127], v[162:163], s[40:41]
	v_add_f64 v[58:59], v[96:97], v[58:59]
	v_fma_f64 v[128:129], v[134:135], s[2:3], v[126:127]
	v_fma_f64 v[96:97], v[134:135], s[2:3], -v[126:127]
	v_add_f64 v[66:67], v[128:129], v[66:67]
	v_mul_f64 v[128:129], v[182:183], s[20:21]
	v_add_f64 v[58:59], v[96:97], v[58:59]
	v_fma_f64 v[130:131], v[156:157], s[4:5], v[128:129]
	v_fma_f64 v[96:97], v[156:157], s[4:5], -v[128:129]
	v_add_f64 v[66:67], v[130:131], v[66:67]
	v_mul_f64 v[130:131], v[198:199], s[38:39]
	v_add_f64 v[58:59], v[96:97], v[58:59]
	v_fma_f64 v[132:133], v[176:177], s[24:25], v[130:131]
	v_fma_f64 v[96:97], v[176:177], s[24:25], -v[130:131]
	v_mul_f64 v[130:131], v[118:119], s[2:3]
	v_add_f64 v[66:67], v[132:133], v[66:67]
	v_mul_f64 v[132:133], v[229:230], s[58:59]
	v_add_f64 v[58:59], v[96:97], v[58:59]
	v_fma_f64 v[140:141], v[194:195], s[18:19], v[132:133]
	v_fma_f64 v[96:97], v[194:195], s[18:19], -v[132:133]
	v_mul_f64 v[132:133], v[138:139], s[4:5]
	v_add_f64 v[66:67], v[140:141], v[66:67]
	v_mul_f64 v[140:141], v[245:246], s[16:17]
	v_add_f64 v[58:59], v[96:97], v[58:59]
	v_fma_f64 v[96:97], v[214:215], s[0:1], -v[140:141]
	v_fma_f64 v[144:145], v[214:215], s[0:1], v[140:141]
	v_add_f64 v[96:97], v[96:97], v[58:59]
	v_fma_f64 v[58:59], v[251:252], s[28:29], v[146:147]
	v_add_f64 v[144:145], v[144:145], v[66:67]
	v_fma_f64 v[66:67], v[251:252], s[56:57], v[146:147]
	v_mul_f64 v[146:147], v[158:159], s[24:25]
	v_add_f64 v[58:59], v[58:59], v[56:57]
	v_add_f64 v[56:57], v[98:99], v[96:97]
	v_mul_f64 v[96:97], v[118:119], s[24:25]
	v_add_f64 v[66:67], v[66:67], v[64:65]
	v_fma_f64 v[64:65], v[231:232], s[22:23], v[148:149]
	v_add_f64 v[146:147], v[166:167], v[146:147]
	v_mul_f64 v[148:149], v[176:177], s[30:31]
	v_mul_f64 v[166:167], v[214:215], s[36:37]
	v_fma_f64 v[98:99], v[136:137], s[34:35], v[96:97]
	v_fma_f64 v[96:97], v[136:137], s[38:39], v[96:97]
	v_add_f64 v[64:65], v[64:65], v[144:145]
	v_mul_f64 v[144:145], v[156:157], s[24:25]
	v_add_f64 v[78:79], v[98:99], v[78:79]
	v_mul_f64 v[98:99], v[138:139], s[30:31]
	;; [unrolled: 2-line block ×3, first 2 shown]
	v_add_f64 v[20:21], v[144:145], -v[160:161]
	v_fma_f64 v[100:101], v[152:153], s[46:47], v[98:99]
	v_fma_f64 v[98:99], v[152:153], s[42:43], v[98:99]
	v_add_f64 v[78:79], v[100:101], v[78:79]
	v_mul_f64 v[100:101], v[158:159], s[0:1]
	v_add_f64 v[48:49], v[98:99], v[48:49]
	v_mul_f64 v[98:99], v[245:246], s[56:57]
	v_fma_f64 v[108:109], v[172:173], s[16:17], v[100:101]
	v_fma_f64 v[100:101], v[172:173], s[54:55], v[100:101]
	v_mul_f64 v[172:173], v[214:215], s[4:5]
	v_add_f64 v[78:79], v[108:109], v[78:79]
	v_mul_f64 v[108:109], v[178:179], s[4:5]
	v_add_f64 v[48:49], v[100:101], v[48:49]
	v_mul_f64 v[100:101], v[235:236], s[2:3]
	v_fma_f64 v[110:111], v[2:3], s[52:53], v[108:109]
	v_fma_f64 v[2:3], v[2:3], s[20:21], v[108:109]
	;; [unrolled: 1-line block ×4, first 2 shown]
	v_add_f64 v[78:79], v[110:111], v[78:79]
	v_mul_f64 v[110:111], v[196:197], s[36:37]
	v_add_f64 v[2:3], v[2:3], v[48:49]
	v_fma_f64 v[112:113], v[212:213], s[48:49], v[110:111]
	v_fma_f64 v[110:111], v[212:213], s[50:51], v[110:111]
	v_add_f64 v[78:79], v[112:113], v[78:79]
	v_mul_f64 v[112:113], v[216:217], s[22:23]
	v_add_f64 v[2:3], v[110:111], v[2:3]
	v_mul_f64 v[110:111], v[102:103], s[0:1]
	v_fma_f64 v[114:115], v[237:238], s[28:29], v[112:113]
	v_fma_f64 v[112:113], v[237:238], s[56:57], v[112:113]
	v_add_f64 v[78:79], v[114:115], v[78:79]
	v_mul_f64 v[114:115], v[120:121], s[26:27]
	v_mul_f64 v[120:121], v[142:143], s[38:39]
	v_add_f64 v[112:113], v[112:113], v[2:3]
	v_mul_f64 v[2:3], v[216:217], s[18:19]
	v_fma_f64 v[122:123], v[102:103], s[18:19], v[114:115]
	v_fma_f64 v[124:125], v[116:117], s[24:25], v[120:121]
	v_fma_f64 v[48:49], v[102:103], s[18:19], -v[114:115]
	v_fma_f64 v[114:115], v[116:117], s[24:25], -v[120:121]
	buffer_load_dword v120, off, s[64:67], 0 offset:212 ; 4-byte Folded Reload
	buffer_load_dword v121, off, s[64:67], 0 offset:216 ; 4-byte Folded Reload
	v_add_f64 v[122:123], v[4:5], v[122:123]
	v_add_f64 v[48:49], v[4:5], v[48:49]
	;; [unrolled: 1-line block ×3, first 2 shown]
	v_mul_f64 v[124:125], v[162:163], s[42:43]
	v_add_f64 v[48:49], v[114:115], v[48:49]
	v_mul_f64 v[162:163], v[196:197], s[30:31]
	v_fma_f64 v[126:127], v[134:135], s[30:31], v[124:125]
	v_fma_f64 v[114:115], v[134:135], s[30:31], -v[124:125]
	buffer_load_dword v124, off, s[64:67], 0 offset:244 ; 4-byte Folded Reload
	buffer_load_dword v125, off, s[64:67], 0 offset:248 ; 4-byte Folded Reload
	;; [unrolled: 1-line block ×10, first 2 shown]
	v_add_f64 v[162:163], v[204:205], v[162:163]
	v_add_f64 v[122:123], v[126:127], v[122:123]
	v_mul_f64 v[126:127], v[182:183], s[54:55]
	v_add_f64 v[48:49], v[114:115], v[48:49]
	v_mul_f64 v[182:183], v[235:236], s[24:25]
	v_fma_f64 v[114:115], v[156:157], s[0:1], -v[126:127]
	v_fma_f64 v[128:129], v[156:157], s[0:1], v[126:127]
	v_mul_f64 v[126:127], v[196:197], s[0:1]
	v_add_f64 v[48:49], v[114:115], v[48:49]
	v_mul_f64 v[114:115], v[104:105], s[4:5]
	v_add_f64 v[122:123], v[128:129], v[122:123]
	v_fma_f64 v[128:129], v[176:177], s[4:5], v[106:107]
	v_fma_f64 v[106:107], v[176:177], s[4:5], -v[106:107]
	v_add_f64 v[122:123], v[128:129], v[122:123]
	v_add_f64 v[48:49], v[106:107], v[48:49]
	v_mul_f64 v[106:107], v[158:159], s[30:31]
	v_fma_f64 v[128:129], v[194:195], s[36:37], v[96:97]
	v_fma_f64 v[96:97], v[194:195], s[36:37], -v[96:97]
	v_add_f64 v[106:107], v[184:185], v[106:107]
	v_add_f64 v[122:123], v[128:129], v[122:123]
	v_fma_f64 v[128:129], v[214:215], s[22:23], v[98:99]
	v_add_f64 v[48:49], v[96:97], v[48:49]
	v_mul_f64 v[96:97], v[102:103], s[2:3]
	v_mul_f64 v[102:103], v[102:103], s[4:5]
	v_fma_f64 v[98:99], v[214:215], s[22:23], -v[98:99]
	v_mul_f64 v[184:185], v[235:236], s[0:1]
	v_add_f64 v[122:123], v[128:129], v[122:123]
	v_add_f64 v[128:129], v[241:242], v[2:3]
	v_add_f64 v[2:3], v[227:228], v[126:127]
	s_waitcnt vmcnt(10)
	v_add_f64 v[114:115], v[120:121], v[114:115]
	v_mul_f64 v[120:121], v[118:119], s[22:23]
	v_mul_f64 v[126:127], v[116:117], s[18:19]
	v_add_f64 v[98:99], v[98:99], v[48:49]
	v_mul_f64 v[48:49], v[156:157], s[30:31]
	v_mul_f64 v[118:119], v[118:119], s[18:19]
	v_add_f64 v[114:115], v[6:7], v[114:115]
	v_add_f64 v[48:49], v[48:49], -v[180:181]
	v_mul_f64 v[180:181], v[231:232], s[24:25]
	s_waitcnt vmcnt(8)
	v_add_f64 v[120:121], v[124:125], v[120:121]
	v_mul_f64 v[124:125], v[138:139], s[24:25]
	s_waitcnt vmcnt(6)
	v_add_f64 v[102:103], v[102:103], -v[136:137]
	v_mul_f64 v[136:137], v[134:135], s[22:23]
	v_mul_f64 v[138:139], v[138:139], s[22:23]
	s_waitcnt vmcnt(0)
	v_add_f64 v[118:119], v[152:153], v[118:119]
	v_mul_f64 v[152:153], v[178:179], s[30:31]
	v_add_f64 v[114:115], v[120:121], v[114:115]
	v_add_f64 v[124:125], v[164:165], v[124:125]
	v_mul_f64 v[120:121], v[178:179], s[2:3]
	v_add_f64 v[102:103], v[4:5], v[102:103]
	v_mul_f64 v[164:165], v[194:195], s[0:1]
	;; [unrolled: 2-line block ×3, first 2 shown]
	v_mul_f64 v[104:105], v[104:105], s[2:3]
	v_add_f64 v[120:121], v[200:201], v[120:121]
	v_add_f64 v[106:107], v[106:107], v[114:115]
	v_mul_f64 v[114:115], v[116:117], s[2:3]
	v_add_f64 v[104:105], v[142:143], v[104:105]
	v_mul_f64 v[142:143], v[158:159], s[18:19]
	buffer_load_dword v158, off, s[64:67], 0 offset:236 ; 4-byte Folded Reload
	buffer_load_dword v159, off, s[64:67], 0 offset:240 ; 4-byte Folded Reload
	v_mul_f64 v[116:117], v[116:117], s[22:23]
	v_add_f64 v[106:107], v[120:121], v[106:107]
	v_mul_f64 v[120:121], v[134:135], s[4:5]
	v_mul_f64 v[134:135], v[134:135], s[24:25]
	v_add_f64 v[104:105], v[6:7], v[104:105]
	v_add_f64 v[22:23], v[150:151], v[142:143]
	v_add_f64 v[116:117], v[116:117], -v[140:141]
	v_mul_f64 v[140:141], v[156:157], s[18:19]
	v_mul_f64 v[156:157], v[176:177], s[2:3]
	v_add_f64 v[106:107], v[2:3], v[106:107]
	v_add_f64 v[2:3], v[108:109], v[78:79]
	v_add_f64 v[134:135], v[134:135], -v[154:155]
	v_add_f64 v[104:105], v[118:119], v[104:105]
	v_mul_f64 v[154:155], v[178:179], s[36:37]
	v_add_f64 v[102:103], v[116:117], v[102:103]
	v_mul_f64 v[116:117], v[176:177], s[36:37]
	v_add_f64 v[156:157], v[156:157], -v[192:193]
	v_mul_f64 v[176:177], v[216:217], s[4:5]
	v_mul_f64 v[118:119], v[196:197], s[22:23]
	;; [unrolled: 1-line block ×4, first 2 shown]
	v_add_f64 v[154:155], v[186:187], v[154:155]
	v_add_f64 v[102:103], v[134:135], v[102:103]
	v_mul_f64 v[134:135], v[194:195], s[30:31]
	v_mul_f64 v[186:187], v[235:236], s[36:37]
	v_add_f64 v[108:109], v[220:221], v[176:177]
	v_add_f64 v[106:107], v[128:129], v[106:107]
	v_add_f64 v[76:77], v[178:179], -v[222:223]
	v_add_f64 v[50:51], v[196:197], -v[247:248]
	v_add_f64 v[102:103], v[48:49], v[102:103]
	v_mul_f64 v[48:49], v[239:240], s[40:41]
	v_add_f64 v[0:1], v[134:135], -v[0:1]
	v_add_f64 v[78:79], v[249:250], v[186:187]
	v_add_f64 v[102:103], v[156:157], v[102:103]
	v_fma_f64 v[192:193], v[231:232], s[2:3], v[48:49]
	s_waitcnt vmcnt(0)
	v_add_f64 v[138:139], v[158:159], v[138:139]
	v_mul_f64 v[158:159], v[194:195], s[22:23]
	v_fma_f64 v[194:195], v[231:232], s[2:3], -v[48:49]
	v_add_f64 v[48:49], v[100:101], v[112:113]
	buffer_load_dword v112, off, s[64:67], 0 offset:60 ; 4-byte Folded Reload
	buffer_load_dword v113, off, s[64:67], 0 offset:64 ; 4-byte Folded Reload
	;; [unrolled: 1-line block ×6, first 2 shown]
	v_add_f64 v[100:101], v[164:165], -v[208:209]
	v_add_f64 v[104:105], v[138:139], v[104:105]
	v_mul_f64 v[138:139], v[216:217], s[36:37]
	v_add_f64 v[100:101], v[100:101], v[102:103]
	v_add_f64 v[104:105], v[146:147], v[104:105]
	v_mul_f64 v[146:147], v[231:232], s[0:1]
	v_add_f64 v[102:103], v[243:244], v[184:185]
	v_add_f64 v[26:27], v[76:77], v[100:101]
	;; [unrolled: 1-line block ×6, first 2 shown]
	s_waitcnt vmcnt(4)
	v_add_f64 v[112:113], v[112:113], v[124:125]
	s_waitcnt vmcnt(2)
	v_add_f64 v[12:13], v[110:111], -v[12:13]
	s_waitcnt vmcnt(0)
	v_add_f64 v[14:15], v[96:97], -v[14:15]
	buffer_load_dword v96, off, s[64:67], 0 offset:116 ; 4-byte Folded Reload
	buffer_load_dword v97, off, s[64:67], 0 offset:120 ; 4-byte Folded Reload
	;; [unrolled: 1-line block ×6, first 2 shown]
	v_add_f64 v[6:7], v[6:7], v[112:113]
	v_add_f64 v[12:13], v[4:5], v[12:13]
	v_add_f64 v[4:5], v[4:5], v[14:15]
	buffer_load_dword v14, off, s[64:67], 0 offset:228 ; 4-byte Folded Reload
	buffer_load_dword v15, off, s[64:67], 0 offset:232 ; 4-byte Folded Reload
	;; [unrolled: 1-line block ×6, first 2 shown]
	s_waitcnt vmcnt(10)
	v_add_f64 v[96:97], v[126:127], -v[96:97]
	s_waitcnt vmcnt(8)
	v_add_f64 v[108:109], v[108:109], v[130:131]
	s_waitcnt vmcnt(6)
	v_add_f64 v[110:111], v[114:115], -v[110:111]
	s_waitcnt vmcnt(4)
	v_add_f64 v[14:15], v[136:137], -v[14:15]
	s_waitcnt vmcnt(2)
	v_add_f64 v[16:17], v[16:17], v[132:133]
	v_add_f64 v[6:7], v[108:109], v[6:7]
	s_waitcnt vmcnt(0)
	v_add_f64 v[18:19], v[120:121], -v[18:19]
	v_add_f64 v[12:13], v[110:111], v[12:13]
	v_add_f64 v[4:5], v[96:97], v[4:5]
	;; [unrolled: 1-line block ×3, first 2 shown]
	buffer_load_dword v16, off, s[64:67], 0 offset:220 ; 4-byte Folded Reload
	buffer_load_dword v17, off, s[64:67], 0 offset:224 ; 4-byte Folded Reload
	v_add_f64 v[12:13], v[18:19], v[12:13]
	v_add_f64 v[4:5], v[14:15], v[4:5]
	;; [unrolled: 1-line block ×3, first 2 shown]
	v_add_f64 v[14:15], v[116:117], -v[174:175]
	v_add_f64 v[6:7], v[22:23], v[6:7]
	v_add_f64 v[22:23], v[148:149], -v[168:169]
	v_add_f64 v[4:5], v[20:21], v[4:5]
	v_add_f64 v[20:21], v[206:207], v[138:139]
	;; [unrolled: 1-line block ×3, first 2 shown]
	v_add_f64 v[18:19], v[158:159], -v[188:189]
	v_add_f64 v[4:5], v[14:15], v[4:5]
	v_add_f64 v[14:15], v[172:173], -v[210:211]
	v_add_f64 v[0:1], v[0:1], v[4:5]
	v_add_f64 v[4:5], v[146:147], -v[233:234]
	v_add_f64 v[0:1], v[14:15], v[0:1]
	s_waitcnt vmcnt(0)
	v_add_f64 v[16:17], v[140:141], -v[16:17]
	v_add_f64 v[12:13], v[16:17], v[12:13]
	v_add_f64 v[16:17], v[190:191], v[118:119]
	;; [unrolled: 1-line block ×4, first 2 shown]
	v_add_f64 v[16:17], v[166:167], -v[202:203]
	v_add_f64 v[22:23], v[180:181], -v[218:219]
	v_add_f64 v[12:13], v[18:19], v[12:13]
	v_add_f64 v[18:19], v[225:226], v[182:183]
	;; [unrolled: 1-line block ×11, first 2 shown]
	v_mul_lo_u16_e32 v20, 17, v255
	v_add_f64 v[12:13], v[22:23], v[12:13]
	v_add_lshl_u32 v20, v253, v20, 4
	v_add_f64 v[0:1], v[192:193], v[122:123]
	ds_write_b128 v20, v[16:19]
	ds_write_b128 v20, v[12:15] offset:16
	ds_write_b128 v20, v[8:11] offset:32
	;; [unrolled: 1-line block ×15, first 2 shown]
	buffer_load_dword v0, off, s[64:67], 0  ; 4-byte Folded Reload
	buffer_load_dword v1, off, s[64:67], 0 offset:4 ; 4-byte Folded Reload
	buffer_load_dword v2, off, s[64:67], 0 offset:8 ; 4-byte Folded Reload
	;; [unrolled: 1-line block ×3, first 2 shown]
	s_waitcnt vmcnt(0)
	ds_write_b128 v20, v[0:3] offset:256
.LBB0_7:
	s_or_b64 exec, exec, s[44:45]
	v_add_lshl_u32 v214, v253, v255, 4
	s_waitcnt lgkmcnt(0)
	s_barrier
	ds_read_b128 v[64:67], v214
	ds_read_b128 v[68:71], v214 offset:544
	ds_read_b128 v[72:75], v214 offset:4624
	;; [unrolled: 1-line block ×13, first 2 shown]
	v_cmp_gt_u16_e64 s[0:1], 17, v255
	s_and_saveexec_b64 s[2:3], s[0:1]
	s_cbranch_execz .LBB0_9
; %bb.8:
	ds_read_b128 v[52:55], v214 offset:3808
	ds_read_b128 v[60:63], v214 offset:7888
.LBB0_9:
	s_or_b64 exec, exec, s[2:3]
	v_add_co_u32_e64 v2, s[2:3], 34, v255
	v_addc_co_u32_e64 v3, s[2:3], 0, 0, s[2:3]
	s_movk_i32 s2, 0x44
	v_add_co_u32_e64 v0, s[2:3], s2, v255
	v_addc_co_u32_e64 v1, s[2:3], 0, 0, s[2:3]
	s_movk_i32 s2, 0xffef
	v_add_co_u32_e64 v4, s[2:3], s2, v255
	v_addc_co_u32_e64 v5, s[2:3], 0, -1, s[2:3]
	v_cndmask_b32_e64 v9, v5, 0, s[0:1]
	v_cndmask_b32_e64 v8, v4, v255, s[0:1]
	v_lshlrev_b64 v[4:5], 4, v[8:9]
	v_mov_b32_e32 v6, s9
	v_add_co_u32_e64 v4, s[2:3], s8, v4
	v_addc_co_u32_e64 v5, s[2:3], v6, v5, s[2:3]
	s_movk_i32 s2, 0xf1
	v_mul_lo_u16_sdwa v6, v2, s2 dst_sel:DWORD dst_unused:UNUSED_PAD src0_sel:BYTE_0 src1_sel:DWORD
	v_lshrrev_b16_e32 v11, 12, v6
	v_mul_lo_u16_e32 v6, 17, v11
	v_mul_lo_u16_sdwa v100, v0, s2 dst_sel:DWORD dst_unused:UNUSED_PAD src0_sel:BYTE_0 src1_sel:DWORD
	v_sub_u16_e32 v12, v2, v6
	v_mov_b32_e32 v9, 4
	v_lshrrev_b16_e32 v13, 12, v100
	v_lshlrev_b32_sdwa v6, v9, v12 dst_sel:DWORD dst_unused:UNUSED_PAD src0_sel:DWORD src1_sel:BYTE_0
	global_load_dwordx4 v[32:35], v[4:5], off
	global_load_dwordx4 v[28:31], v6, s[8:9]
	v_mul_lo_u16_e32 v4, 17, v13
	v_sub_u16_e32 v14, v0, v4
	v_add_u16_e32 v4, 0x88, v255
	v_mul_lo_u16_sdwa v5, v4, s2 dst_sel:DWORD dst_unused:UNUSED_PAD src0_sel:BYTE_0 src1_sel:DWORD
	v_add_u16_e32 v20, 0xaa, v255
	v_lshrrev_b16_e32 v17, 12, v5
	v_mul_lo_u16_sdwa v21, v20, s2 dst_sel:DWORD dst_unused:UNUSED_PAD src0_sel:BYTE_0 src1_sel:DWORD
	v_mul_lo_u16_e32 v18, 17, v17
	v_lshrrev_b16_e32 v21, 12, v21
	v_sub_u16_e32 v18, v4, v18
	v_mul_lo_u16_e32 v22, 17, v21
	v_lshlrev_b32_sdwa v10, v9, v14 dst_sel:DWORD dst_unused:UNUSED_PAD src0_sel:DWORD src1_sel:BYTE_0
	v_lshlrev_b32_sdwa v19, v9, v18 dst_sel:DWORD dst_unused:UNUSED_PAD src0_sel:DWORD src1_sel:BYTE_0
	v_sub_u16_e32 v20, v20, v22
	v_lshlrev_b32_sdwa v22, v9, v20 dst_sel:DWORD dst_unused:UNUSED_PAD src0_sel:DWORD src1_sel:BYTE_0
	global_load_dwordx4 v[127:130], v19, s[8:9]
	global_load_dwordx4 v[24:27], v22, s[8:9]
	;; [unrolled: 1-line block ×3, first 2 shown]
	v_add_u16_e32 v6, 0x66, v255
	v_add_u16_e32 v19, 0xcc, v255
	v_mul_lo_u16_sdwa v7, v6, s2 dst_sel:DWORD dst_unused:UNUSED_PAD src0_sel:BYTE_0 src1_sel:DWORD
	v_mul_lo_u16_sdwa v22, v19, s2 dst_sel:DWORD dst_unused:UNUSED_PAD src0_sel:BYTE_0 src1_sel:DWORD
	v_lshrrev_b16_e32 v15, 12, v7
	v_lshrrev_b16_e32 v22, 12, v22
	v_mul_lo_u16_e32 v16, 17, v15
	v_mul_lo_u16_e32 v23, 17, v22
	v_sub_u16_e32 v19, v19, v23
	v_sub_u16_e32 v16, v6, v16
	v_lshlrev_b32_sdwa v23, v9, v19 dst_sel:DWORD dst_unused:UNUSED_PAD src0_sel:DWORD src1_sel:BYTE_0
	v_lshlrev_b32_sdwa v9, v9, v16 dst_sel:DWORD dst_unused:UNUSED_PAD src0_sel:DWORD src1_sel:BYTE_0
	global_load_dwordx4 v[135:138], v9, s[8:9]
	v_add_u32_e32 v9, 0xee, v255
	s_mov_b32 s2, 0xf0f1
	v_mul_u32_u24_sdwa v10, v9, s2 dst_sel:DWORD dst_unused:UNUSED_PAD src0_sel:WORD_0 src1_sel:DWORD
	v_lshrrev_b32_e32 v10, 20, v10
	v_mul_lo_u16_e32 v10, 17, v10
	global_load_dwordx4 v[220:223], v23, s[8:9]
	v_sub_u16_e32 v194, v9, v10
	v_lshlrev_b32_e32 v9, 4, v194
	global_load_dwordx4 v[216:219], v9, s[8:9]
	s_load_dwordx4 s[4:7], s[6:7], 0x0
	v_cmp_lt_u16_e64 s[2:3], 16, v255
	s_waitcnt vmcnt(7) lgkmcnt(0)
	v_mul_f64 v[9:10], v[98:99], v[34:35]
	v_mul_f64 v[101:102], v[96:97], v[34:35]
	s_waitcnt vmcnt(6)
	v_mul_f64 v[103:104], v[74:75], v[30:31]
	v_mul_f64 v[105:106], v[72:73], v[30:31]
	v_fma_f64 v[9:10], v[96:97], v[32:33], -v[9:10]
	v_fma_f64 v[96:97], v[98:99], v[32:33], v[101:102]
	v_fma_f64 v[98:99], v[72:73], v[28:29], -v[103:104]
	v_fma_f64 v[101:102], v[74:75], v[28:29], v[105:106]
	s_waitcnt vmcnt(5)
	v_mul_f64 v[107:108], v[86:87], v[129:130]
	s_waitcnt vmcnt(4)
	v_mul_f64 v[111:112], v[94:95], v[26:27]
	;; [unrolled: 2-line block ×3, first 2 shown]
	v_mul_f64 v[121:122], v[76:77], v[133:134]
	v_mul_f64 v[109:110], v[84:85], v[129:130]
	;; [unrolled: 1-line block ×3, first 2 shown]
	v_add_f64 v[72:73], v[64:65], -v[9:10]
	v_add_f64 v[74:75], v[66:67], -v[96:97]
	v_fma_f64 v[84:85], v[84:85], v[127:128], -v[107:108]
	v_fma_f64 v[92:93], v[92:93], v[24:25], -v[111:112]
	;; [unrolled: 1-line block ×3, first 2 shown]
	buffer_store_dword v131, off, s[64:67], 0 offset:60 ; 4-byte Folded Spill
	s_nop 0
	buffer_store_dword v132, off, s[64:67], 0 offset:64 ; 4-byte Folded Spill
	buffer_store_dword v133, off, s[64:67], 0 offset:68 ; 4-byte Folded Spill
	;; [unrolled: 1-line block ×3, first 2 shown]
	v_add_f64 v[76:77], v[68:69], -v[98:99]
	s_waitcnt vmcnt(6)
	v_mul_f64 v[123:124], v[82:83], v[137:138]
	v_mul_f64 v[125:126], v[80:81], v[137:138]
	v_add_f64 v[84:85], v[48:49], -v[84:85]
	s_waitcnt vmcnt(5)
	v_mul_f64 v[115:116], v[90:91], v[222:223]
	v_mul_f64 v[117:118], v[88:89], v[222:223]
	v_fma_f64 v[119:120], v[80:81], v[135:136], -v[123:124]
	buffer_store_dword v135, off, s[64:67], 0 offset:76 ; 4-byte Folded Spill
	s_nop 0
	buffer_store_dword v136, off, s[64:67], 0 offset:80 ; 4-byte Folded Spill
	buffer_store_dword v137, off, s[64:67], 0 offset:84 ; 4-byte Folded Spill
	buffer_store_dword v138, off, s[64:67], 0 offset:88 ; 4-byte Folded Spill
	buffer_store_dword v127, off, s[64:67], 0 offset:44 ; 4-byte Folded Spill
	s_nop 0
	buffer_store_dword v128, off, s[64:67], 0 offset:48 ; 4-byte Folded Spill
	buffer_store_dword v129, off, s[64:67], 0 offset:52 ; 4-byte Folded Spill
	buffer_store_dword v130, off, s[64:67], 0 offset:56 ; 4-byte Folded Spill
	;; [unrolled: 5-line block ×3, first 2 shown]
	v_add_f64 v[80:81], v[56:57], -v[103:104]
	v_fma_f64 v[107:108], v[88:89], v[220:221], -v[115:116]
	s_waitcnt vmcnt(16)
	v_mul_f64 v[88:89], v[62:63], v[218:219]
	s_waitcnt vmcnt(0)
	s_barrier
	v_fma_f64 v[48:49], v[48:49], 2.0, -v[84:85]
	v_fma_f64 v[56:57], v[56:57], 2.0, -v[80:81]
	v_fma_f64 v[9:10], v[60:61], v[216:217], -v[88:89]
	v_add_f64 v[88:89], v[44:45], -v[92:93]
	v_add_f64 v[92:93], v[36:37], -v[107:108]
	v_fma_f64 v[44:45], v[44:45], 2.0, -v[88:89]
	v_fma_f64 v[36:37], v[36:37], 2.0, -v[92:93]
	v_fma_f64 v[105:106], v[78:79], v[131:132], v[121:122]
	v_add_f64 v[78:79], v[70:71], -v[101:102]
	v_fma_f64 v[121:122], v[82:83], v[135:136], v[125:126]
	v_fma_f64 v[86:87], v[86:87], v[127:128], v[109:110]
	;; [unrolled: 1-line block ×3, first 2 shown]
	v_mul_f64 v[90:91], v[60:61], v[218:219]
	v_add_f64 v[82:83], v[58:59], -v[105:106]
	v_fma_f64 v[94:95], v[94:95], v[24:25], v[113:114]
	v_fma_f64 v[60:61], v[64:65], 2.0, -v[72:73]
	v_fma_f64 v[64:65], v[68:69], 2.0, -v[76:77]
	v_add_f64 v[68:69], v[40:41], -v[119:120]
	v_add_f64 v[86:87], v[50:51], -v[86:87]
	;; [unrolled: 1-line block ×3, first 2 shown]
	v_fma_f64 v[96:97], v[62:63], v[216:217], v[90:91]
	v_fma_f64 v[62:63], v[66:67], 2.0, -v[74:75]
	v_fma_f64 v[66:67], v[70:71], 2.0, -v[78:79]
	;; [unrolled: 1-line block ×3, first 2 shown]
	v_add_f64 v[70:71], v[42:43], -v[121:122]
	v_add_f64 v[90:91], v[46:47], -v[94:95]
	;; [unrolled: 1-line block ×3, first 2 shown]
	v_cndmask_b32_e64 v9, 0, 34, s[2:3]
	v_add_u32_e32 v8, v8, v9
	v_add_lshl_u32 v195, v253, v8, 4
	v_mad_legacy_u16 v8, v11, 34, v12
	v_and_b32_e32 v8, 0xff, v8
	v_add_lshl_u32 v224, v253, v8, 4
	v_mul_u32_u24_e32 v8, 34, v13
	v_add_u32_sdwa v8, v8, v14 dst_sel:DWORD dst_unused:UNUSED_PAD src0_sel:DWORD src1_sel:BYTE_0
	v_add_lshl_u32 v8, v253, v8, 4
	ds_write_b128 v195, v[60:63]
	ds_write_b128 v195, v[72:75] offset:272
	ds_write_b128 v224, v[64:67]
	ds_write_b128 v224, v[76:79] offset:272
	ds_write_b128 v8, v[56:59]
	buffer_store_dword v8, off, s[64:67], 0 offset:92 ; 4-byte Folded Spill
	ds_write_b128 v8, v[80:83] offset:272
	v_mul_u32_u24_e32 v8, 34, v15
	v_fma_f64 v[40:41], v[40:41], 2.0, -v[68:69]
	v_fma_f64 v[42:43], v[42:43], 2.0, -v[70:71]
	;; [unrolled: 1-line block ×5, first 2 shown]
	v_add_f64 v[118:119], v[54:55], -v[96:97]
	v_add_u32_sdwa v8, v8, v16 dst_sel:DWORD dst_unused:UNUSED_PAD src0_sel:DWORD src1_sel:BYTE_0
	v_add_lshl_u32 v58, v253, v8, 4
	v_mul_u32_u24_e32 v8, 34, v17
	v_add_u32_sdwa v8, v8, v18 dst_sel:DWORD dst_unused:UNUSED_PAD src0_sel:DWORD src1_sel:BYTE_0
	v_add_lshl_u32 v56, v253, v8, 4
	v_mul_u32_u24_e32 v8, 34, v21
	;; [unrolled: 3-line block ×3, first 2 shown]
	v_add_u32_sdwa v8, v8, v19 dst_sel:DWORD dst_unused:UNUSED_PAD src0_sel:DWORD src1_sel:BYTE_0
	v_add_lshl_u32 v63, v253, v8, 4
	ds_write_b128 v58, v[40:43]
	ds_write_b128 v58, v[68:71] offset:272
	ds_write_b128 v56, v[48:51]
	ds_write_b128 v56, v[84:87] offset:272
	;; [unrolled: 2-line block ×4, first 2 shown]
	s_mov_b64 s[2:3], exec
	buffer_load_dword v24, off, s[64:67], 0 ; 4-byte Folded Reload
	buffer_load_dword v25, off, s[64:67], 0 offset:4 ; 4-byte Folded Reload
	buffer_load_dword v26, off, s[64:67], 0 offset:8 ; 4-byte Folded Reload
	;; [unrolled: 1-line block ×3, first 2 shown]
	s_and_b64 s[10:11], s[2:3], s[0:1]
	s_mov_b64 exec, s[10:11]
	s_cbranch_execz .LBB0_11
; %bb.10:
	v_fma_f64 v[38:39], v[54:55], 2.0, -v[118:119]
	v_fma_f64 v[36:37], v[52:53], 2.0, -v[116:117]
	v_add_lshl_u32 v8, v253, v194, 4
	ds_write_b128 v8, v[36:39] offset:7616
	ds_write_b128 v8, v[116:119] offset:7888
.LBB0_11:
	s_or_b64 exec, exec, s[2:3]
	v_lshlrev_b32_e32 v8, 5, v255
	s_waitcnt vmcnt(0) lgkmcnt(0)
	s_barrier
	global_load_dwordx4 v[36:39], v8, s[8:9] offset:288
	global_load_dwordx4 v[40:43], v8, s[8:9] offset:272
	v_lshrrev_b16_e32 v8, 13, v100
	v_lshrrev_b16_e32 v7, 13, v7
	v_mul_lo_u16_e32 v8, 34, v8
	v_mul_lo_u16_e32 v7, 34, v7
	v_lshrrev_b16_e32 v5, 13, v5
	v_sub_u16_e32 v8, v0, v8
	v_sub_u16_e32 v6, v6, v7
	v_mul_lo_u16_e32 v5, 34, v5
	v_and_b32_e32 v12, 0xff, v8
	v_and_b32_e32 v13, 0xff, v6
	v_sub_u16_e32 v4, v4, v5
	v_lshlrev_b32_e32 v8, 5, v12
	v_lshlrev_b32_e32 v6, 5, v13
	v_and_b32_e32 v14, 0xff, v4
	global_load_dwordx4 v[52:55], v8, s[8:9] offset:288
	global_load_dwordx4 v[59:62], v8, s[8:9] offset:272
	;; [unrolled: 1-line block ×4, first 2 shown]
	v_lshlrev_b32_e32 v4, 5, v14
	global_load_dwordx4 v[44:47], v4, s[8:9] offset:272
	global_load_dwordx4 v[19:22], v4, s[8:9] offset:288
	ds_read_b128 v[4:7], v214
	ds_read_b128 v[68:71], v214 offset:544
	ds_read_b128 v[72:75], v214 offset:5440
	;; [unrolled: 1-line block ×14, first 2 shown]
	s_mov_b32 s2, 0xe8584caa
	s_mov_b32 s3, 0x3febb67a
	;; [unrolled: 1-line block ×4, first 2 shown]
	v_lshlrev_b64 v[2:3], 6, v[2:3]
	v_lshlrev_b64 v[0:1], 6, v[0:1]
	s_mov_b32 s17, 0xbfe2cf23
	s_mov_b32 s18, 0x372fe950
	;; [unrolled: 1-line block ×3, first 2 shown]
	s_waitcnt vmcnt(7) lgkmcnt(12)
	v_mul_f64 v[128:129], v[74:75], v[38:39]
	v_mul_f64 v[130:131], v[72:73], v[38:39]
	s_waitcnt vmcnt(6) lgkmcnt(4)
	v_mul_f64 v[10:11], v[104:105], v[42:43]
	v_mul_f64 v[8:9], v[106:107], v[42:43]
	;; [unrolled: 1-line block ×6, first 2 shown]
	v_fma_f64 v[72:73], v[72:73], v[36:37], -v[128:129]
	v_fma_f64 v[74:75], v[74:75], v[36:37], v[130:131]
	v_fma_f64 v[10:11], v[106:107], v[40:41], v[10:11]
	v_fma_f64 v[8:9], v[104:105], v[40:41], -v[8:9]
	v_fma_f64 v[80:81], v[80:81], v[40:41], -v[132:133]
	v_fma_f64 v[82:83], v[82:83], v[40:41], v[134:135]
	v_fma_f64 v[78:79], v[78:79], v[36:37], v[138:139]
	s_waitcnt vmcnt(5)
	v_mul_f64 v[144:145], v[98:99], v[54:55]
	s_waitcnt vmcnt(3)
	v_mul_f64 v[152:153], v[102:103], v[66:67]
	s_waitcnt vmcnt(2) lgkmcnt(2)
	v_mul_f64 v[148:149], v[114:115], v[17:18]
	s_waitcnt vmcnt(1) lgkmcnt(1)
	;; [unrolled: 2-line block ×3, first 2 shown]
	v_mul_f64 v[160:161], v[126:127], v[21:22]
	v_mul_f64 v[150:151], v[112:113], v[17:18]
	;; [unrolled: 1-line block ×6, first 2 shown]
	v_fma_f64 v[128:129], v[112:113], v[15:16], -v[148:149]
	buffer_store_dword v15, off, s[64:67], 0 offset:100 ; 4-byte Folded Spill
	s_nop 0
	buffer_store_dword v16, off, s[64:67], 0 offset:104 ; 4-byte Folded Spill
	buffer_store_dword v17, off, s[64:67], 0 offset:108 ; 4-byte Folded Spill
	buffer_store_dword v18, off, s[64:67], 0 offset:112 ; 4-byte Folded Spill
	v_fma_f64 v[120:121], v[120:121], v[44:45], -v[156:157]
	buffer_store_dword v44, off, s[64:67], 0 offset:132 ; 4-byte Folded Spill
	s_nop 0
	buffer_store_dword v45, off, s[64:67], 0 offset:136 ; 4-byte Folded Spill
	buffer_store_dword v46, off, s[64:67], 0 offset:140 ; 4-byte Folded Spill
	buffer_store_dword v47, off, s[64:67], 0 offset:144 ; 4-byte Folded Spill
	;; [unrolled: 6-line block ×3, first 2 shown]
	v_mul_f64 v[142:143], v[84:85], v[61:62]
	v_fma_f64 v[130:131], v[100:101], v[64:65], -v[152:153]
	v_fma_f64 v[132:133], v[102:103], v[64:65], v[154:155]
	v_add_f64 v[100:101], v[10:11], -v[74:75]
	v_add_f64 v[102:103], v[6:7], v[10:11]
	v_add_f64 v[10:11], v[10:11], v[74:75]
	v_mul_f64 v[146:147], v[96:97], v[54:55]
	v_fma_f64 v[76:77], v[76:77], v[36:37], -v[136:137]
	v_fma_f64 v[104:105], v[84:85], v[59:60], -v[140:141]
	v_fma_f64 v[106:107], v[86:87], v[59:60], v[142:143]
	v_fma_f64 v[96:97], v[96:97], v[52:53], -v[144:145]
	v_add_f64 v[84:85], v[4:5], v[8:9]
	v_add_f64 v[86:87], v[8:9], v[72:73]
	v_add_f64 v[8:9], v[8:9], -v[72:73]
	v_add_f64 v[136:137], v[82:83], -v[78:79]
	v_add_f64 v[138:139], v[70:71], v[82:83]
	v_add_f64 v[82:83], v[82:83], v[78:79]
	v_fma_f64 v[10:11], v[10:11], -0.5, v[6:7]
	v_fma_f64 v[98:99], v[98:99], v[52:53], v[146:147]
	v_add_f64 v[134:135], v[80:81], v[76:77]
	v_add_f64 v[112:113], v[68:69], v[80:81]
	v_add_f64 v[140:141], v[80:81], -v[76:77]
	v_add_f64 v[142:143], v[104:105], v[96:97]
	v_fma_f64 v[80:81], v[86:87], -0.5, v[4:5]
	v_add_f64 v[6:7], v[102:103], v[74:75]
	v_add_f64 v[74:75], v[138:139], v[78:79]
	v_fma_f64 v[86:87], v[82:83], -0.5, v[70:71]
	v_fma_f64 v[70:71], v[8:9], s[10:11], v[10:11]
	v_fma_f64 v[78:79], v[8:9], s[2:3], v[10:11]
	v_add_f64 v[8:9], v[88:89], v[104:105]
	v_add_f64 v[144:145], v[106:107], v[98:99]
	;; [unrolled: 1-line block ×3, first 2 shown]
	v_fma_f64 v[84:85], v[134:135], -0.5, v[68:69]
	v_add_f64 v[102:103], v[128:129], v[130:131]
	v_add_f64 v[72:73], v[112:113], v[76:77]
	v_fma_f64 v[68:69], v[100:101], s[2:3], v[80:81]
	v_fma_f64 v[76:77], v[100:101], s[10:11], v[80:81]
	v_fma_f64 v[10:11], v[142:143], -0.5, v[88:89]
	v_add_f64 v[100:101], v[106:107], -v[98:99]
	v_add_f64 v[106:107], v[90:91], v[106:107]
	v_add_f64 v[88:89], v[8:9], v[96:97]
	v_add_f64 v[8:9], v[92:93], v[128:129]
	v_fma_f64 v[80:81], v[136:137], s[2:3], v[84:85]
	v_fma_f64 v[84:85], v[136:137], s[10:11], v[84:85]
	v_fma_f64 v[112:113], v[144:145], -0.5, v[90:91]
	v_add_f64 v[104:105], v[104:105], -v[96:97]
	v_fma_f64 v[134:135], v[102:103], -0.5, v[92:93]
	v_fma_f64 v[96:97], v[100:101], s[2:3], v[10:11]
	v_fma_f64 v[100:101], v[100:101], s[10:11], v[10:11]
	v_add_f64 v[90:91], v[106:107], v[98:99]
	v_add_f64 v[92:93], v[8:9], v[130:131]
	;; [unrolled: 1-line block ×3, first 2 shown]
	v_add_f64 v[128:129], v[128:129], -v[130:131]
	v_fma_f64 v[98:99], v[104:105], s[10:11], v[112:113]
	v_fma_f64 v[102:103], v[104:105], s[2:3], v[112:113]
	v_add_f64 v[130:131], v[108:109], v[120:121]
	v_add_f64 v[138:139], v[120:121], -v[124:125]
	v_fma_f64 v[82:83], v[140:141], s[10:11], v[86:87]
	v_fma_f64 v[86:87], v[140:141], s[2:3], v[86:87]
	v_fma_f64 v[8:9], v[8:9], -0.5, v[108:109]
	s_waitcnt vmcnt(0)
	s_barrier
	v_add_f64 v[108:109], v[130:131], v[124:125]
	ds_write_b128 v214, v[4:7]
	ds_write_b128 v214, v[68:71] offset:544
	ds_write_b128 v214, v[76:79] offset:1088
	;; [unrolled: 1-line block ×5, first 2 shown]
	v_add_lshl_u32 v71, v253, v12, 4
	v_add_lshl_u32 v72, v253, v13, 4
	;; [unrolled: 1-line block ×3, first 2 shown]
	v_lshlrev_b32_e32 v4, 6, v255
	ds_write_b128 v71, v[88:91] offset:3264
	ds_write_b128 v71, v[96:99] offset:3808
	;; [unrolled: 1-line block ×3, first 2 shown]
	v_fma_f64 v[114:115], v[114:115], v[15:16], v[150:151]
	v_fma_f64 v[122:123], v[122:123], v[44:45], v[158:159]
	;; [unrolled: 1-line block ×3, first 2 shown]
	v_add_f64 v[136:137], v[114:115], -v[132:133]
	v_add_f64 v[10:11], v[114:115], v[132:133]
	v_add_f64 v[114:115], v[94:95], v[114:115]
	;; [unrolled: 1-line block ×3, first 2 shown]
	v_fma_f64 v[104:105], v[136:137], s[2:3], v[134:135]
	v_fma_f64 v[112:113], v[136:137], s[10:11], v[134:135]
	v_add_f64 v[134:135], v[122:123], -v[126:127]
	v_add_f64 v[122:123], v[110:111], v[122:123]
	v_fma_f64 v[10:11], v[10:11], -0.5, v[94:95]
	v_fma_f64 v[136:137], v[106:107], -0.5, v[110:111]
	v_add_f64 v[94:95], v[114:115], v[132:133]
	v_fma_f64 v[120:121], v[134:135], s[2:3], v[8:9]
	v_add_f64 v[110:111], v[122:123], v[126:127]
	v_fma_f64 v[106:107], v[128:129], s[10:11], v[10:11]
	v_fma_f64 v[122:123], v[138:139], s[10:11], v[136:137]
	;; [unrolled: 1-line block ×5, first 2 shown]
	ds_write_b128 v72, v[92:95] offset:4896
	ds_write_b128 v72, v[104:107] offset:5440
	;; [unrolled: 1-line block ×6, first 2 shown]
	s_waitcnt lgkmcnt(0)
	s_barrier
	global_load_dwordx4 v[44:47], v4, s[8:9] offset:1360
	global_load_dwordx4 v[20:23], v4, s[8:9] offset:1376
	;; [unrolled: 1-line block ×4, first 2 shown]
	v_mov_b32_e32 v4, s9
	v_add_co_u32_e64 v2, s[2:3], s8, v2
	v_addc_co_u32_e64 v3, s[2:3], v4, v3, s[2:3]
	v_add_co_u32_e64 v0, s[2:3], s8, v0
	v_addc_co_u32_e64 v1, s[2:3], v4, v1, s[2:3]
	global_load_dwordx4 v[100:103], v[2:3], off offset:1360
	global_load_dwordx4 v[96:99], v[2:3], off offset:1376
	;; [unrolled: 1-line block ×8, first 2 shown]
	ds_read_b128 v[0:3], v214
	ds_read_b128 v[4:7], v214 offset:544
	ds_read_b128 v[120:123], v214 offset:3264
	;; [unrolled: 1-line block ×14, first 2 shown]
	s_mov_b32 s2, 0x134454ff
	s_mov_b32 s3, 0x3fee6f0e
	s_mov_b32 s8, 0x4755a5e
	s_mov_b32 s9, 0x3fe2cf23
	s_mov_b32 s11, 0xbfee6f0e
	s_mov_b32 s10, s2
	s_mov_b32 s16, s8
	s_waitcnt vmcnt(11) lgkmcnt(8)
	v_mul_f64 v[8:9], v[138:139], v[46:47]
	v_mul_f64 v[10:11], v[136:137], v[46:47]
	s_waitcnt vmcnt(10)
	v_mul_f64 v[172:173], v[122:123], v[22:23]
	v_mul_f64 v[174:175], v[120:121], v[22:23]
	s_waitcnt vmcnt(9) lgkmcnt(4)
	v_mul_f64 v[176:177], v[150:151], v[18:19]
	v_mul_f64 v[178:179], v[148:149], v[18:19]
	s_waitcnt vmcnt(8)
	v_mul_f64 v[180:181], v[128:129], v[14:15]
	v_fma_f64 v[8:9], v[136:137], v[44:45], -v[8:9]
	buffer_store_dword v44, off, s[64:67], 0 offset:196 ; 4-byte Folded Spill
	s_nop 0
	buffer_store_dword v45, off, s[64:67], 0 offset:200 ; 4-byte Folded Spill
	buffer_store_dword v46, off, s[64:67], 0 offset:204 ; 4-byte Folded Spill
	;; [unrolled: 1-line block ×3, first 2 shown]
	v_mul_f64 v[136:137], v[130:131], v[14:15]
	v_fma_f64 v[128:129], v[128:129], v[12:13], -v[136:137]
	s_waitcnt vmcnt(11)
	v_mul_f64 v[136:137], v[140:141], v[102:103]
	v_fma_f64 v[182:183], v[142:143], v[100:101], v[136:137]
	v_fma_f64 v[10:11], v[138:139], v[44:45], v[10:11]
	v_fma_f64 v[138:139], v[120:121], v[20:21], -v[172:173]
	buffer_store_dword v20, off, s[64:67], 0 offset:180 ; 4-byte Folded Spill
	s_nop 0
	buffer_store_dword v21, off, s[64:67], 0 offset:184 ; 4-byte Folded Spill
	buffer_store_dword v22, off, s[64:67], 0 offset:188 ; 4-byte Folded Spill
	;; [unrolled: 1-line block ×3, first 2 shown]
	v_mul_f64 v[120:121], v[142:143], v[102:103]
	v_fma_f64 v[172:173], v[122:123], v[20:21], v[174:175]
	v_fma_f64 v[122:123], v[148:149], v[16:17], -v[176:177]
	buffer_store_dword v16, off, s[64:67], 0 offset:164 ; 4-byte Folded Spill
	s_nop 0
	buffer_store_dword v17, off, s[64:67], 0 offset:168 ; 4-byte Folded Spill
	buffer_store_dword v18, off, s[64:67], 0 offset:172 ; 4-byte Folded Spill
	;; [unrolled: 1-line block ×4, first 2 shown]
	s_nop 0
	buffer_store_dword v13, off, s[64:67], 0 offset:152 ; 4-byte Folded Spill
	buffer_store_dword v14, off, s[64:67], 0 offset:156 ; 4-byte Folded Spill
	buffer_store_dword v15, off, s[64:67], 0 offset:160 ; 4-byte Folded Spill
	s_waitcnt vmcnt(22)
	v_mul_f64 v[174:175], v[124:125], v[98:99]
	s_waitcnt vmcnt(21) lgkmcnt(2)
	v_mul_f64 v[176:177], v[158:159], v[94:95]
	v_add_f64 v[136:137], v[138:139], v[122:123]
	v_fma_f64 v[148:149], v[150:151], v[16:17], v[178:179]
	v_fma_f64 v[130:131], v[130:131], v[12:13], v[180:181]
	v_mul_f64 v[150:151], v[126:127], v[98:99]
	v_fma_f64 v[180:181], v[140:141], v[100:101], -v[120:121]
	s_waitcnt vmcnt(20)
	v_mul_f64 v[120:121], v[134:135], v[90:91]
	v_mul_f64 v[178:179], v[156:157], v[94:95]
	v_mul_f64 v[140:141], v[132:133], v[90:91]
	v_fma_f64 v[156:157], v[156:157], v[92:93], -v[176:177]
	v_fma_f64 v[142:143], v[124:125], v[96:97], -v[150:151]
	v_fma_f64 v[150:151], v[126:127], v[96:97], v[174:175]
	s_waitcnt vmcnt(19)
	v_mul_f64 v[124:125], v[146:147], v[114:115]
	v_fma_f64 v[174:175], v[132:133], v[88:89], -v[120:121]
	v_mul_f64 v[120:121], v[144:145], v[114:115]
	s_waitcnt vmcnt(18)
	v_mul_f64 v[126:127], v[154:155], v[110:111]
	v_add_f64 v[132:133], v[0:1], v[8:9]
	v_fma_f64 v[158:159], v[158:159], v[92:93], v[178:179]
	v_fma_f64 v[176:177], v[134:135], v[88:89], v[140:141]
	v_mul_f64 v[134:135], v[152:153], v[110:111]
	v_fma_f64 v[178:179], v[144:145], v[112:113], -v[124:125]
	s_waitcnt vmcnt(17) lgkmcnt(1)
	v_mul_f64 v[124:125], v[166:167], v[106:107]
	v_mul_f64 v[140:141], v[164:165], v[106:107]
	v_fma_f64 v[184:185], v[146:147], v[112:113], v[120:121]
	v_fma_f64 v[186:187], v[152:153], v[108:109], -v[126:127]
	v_add_f64 v[120:121], v[132:133], v[138:139]
	v_fma_f64 v[126:127], v[136:137], -0.5, v[0:1]
	v_add_f64 v[132:133], v[10:11], -v[130:131]
	v_add_f64 v[144:145], v[8:9], v[128:129]
	v_fma_f64 v[188:189], v[154:155], v[108:109], v[134:135]
	v_fma_f64 v[190:191], v[164:165], v[104:105], -v[124:125]
	v_fma_f64 v[166:167], v[166:167], v[104:105], v[140:141]
	s_waitcnt vmcnt(16) lgkmcnt(0)
	v_mul_f64 v[124:125], v[170:171], v[86:87]
	v_mul_f64 v[134:135], v[168:169], v[86:87]
	v_add_f64 v[140:141], v[172:173], -v[148:149]
	v_fma_f64 v[136:137], v[132:133], s[2:3], v[126:127]
	v_add_f64 v[146:147], v[8:9], -v[138:139]
	v_add_f64 v[152:153], v[128:129], -v[122:123]
	v_fma_f64 v[0:1], v[144:145], -0.5, v[0:1]
	v_add_f64 v[144:145], v[172:173], v[148:149]
	v_fma_f64 v[168:169], v[168:169], v[84:85], -v[124:125]
	v_fma_f64 v[170:171], v[170:171], v[84:85], v[134:135]
	v_fma_f64 v[126:127], v[132:133], s[10:11], v[126:127]
	;; [unrolled: 1-line block ×3, first 2 shown]
	v_add_f64 v[136:137], v[2:3], v[10:11]
	v_add_f64 v[134:135], v[146:147], v[152:153]
	v_fma_f64 v[146:147], v[140:141], s[10:11], v[0:1]
	v_add_f64 v[152:153], v[138:139], -v[8:9]
	v_add_f64 v[154:155], v[122:123], -v[128:129]
	v_fma_f64 v[0:1], v[140:141], s[2:3], v[0:1]
	v_add_f64 v[120:121], v[120:121], v[122:123]
	v_fma_f64 v[144:145], v[144:145], -0.5, v[2:3]
	v_add_f64 v[136:137], v[136:137], v[172:173]
	v_add_f64 v[8:9], v[8:9], -v[128:129]
	v_fma_f64 v[126:127], v[140:141], s[16:17], v[126:127]
	v_add_f64 v[138:139], v[138:139], -v[122:123]
	v_add_f64 v[140:141], v[152:153], v[154:155]
	v_fma_f64 v[0:1], v[132:133], s[16:17], v[0:1]
	v_add_f64 v[154:155], v[10:11], v[130:131]
	v_add_f64 v[120:121], v[120:121], v[128:129]
	v_fma_f64 v[128:129], v[132:133], s[8:9], v[146:147]
	v_add_f64 v[146:147], v[136:137], v[148:149]
	v_fma_f64 v[152:153], v[8:9], s[10:11], v[144:145]
	v_fma_f64 v[124:125], v[134:135], s[18:19], v[124:125]
	;; [unrolled: 1-line block ×4, first 2 shown]
	v_fma_f64 v[0:1], v[154:155], -0.5, v[2:3]
	v_add_f64 v[126:127], v[10:11], -v[172:173]
	v_fma_f64 v[128:129], v[140:141], s[18:19], v[128:129]
	v_add_f64 v[122:123], v[146:147], v[130:131]
	v_fma_f64 v[2:3], v[138:139], s[16:17], v[152:153]
	v_add_f64 v[134:135], v[130:131], -v[148:149]
	v_add_f64 v[140:141], v[4:5], v[180:181]
	v_fma_f64 v[144:145], v[8:9], s[2:3], v[144:145]
	v_add_f64 v[146:147], v[142:143], v[156:157]
	v_fma_f64 v[152:153], v[138:139], s[2:3], v[0:1]
	v_add_f64 v[10:11], v[172:173], -v[10:11]
	v_add_f64 v[130:131], v[148:149], -v[130:131]
	v_fma_f64 v[0:1], v[138:139], s[10:11], v[0:1]
	v_add_f64 v[134:135], v[126:127], v[134:135]
	v_add_f64 v[126:127], v[140:141], v[142:143]
	v_fma_f64 v[138:139], v[138:139], s[8:9], v[144:145]
	v_fma_f64 v[144:145], v[146:147], -0.5, v[4:5]
	v_add_f64 v[146:147], v[182:183], -v[176:177]
	v_fma_f64 v[140:141], v[8:9], s[16:17], v[152:153]
	v_add_f64 v[10:11], v[10:11], v[130:131]
	v_fma_f64 v[0:1], v[8:9], s[8:9], v[0:1]
	v_add_f64 v[8:9], v[180:181], v[174:175]
	v_add_f64 v[148:149], v[126:127], v[156:157]
	v_fma_f64 v[126:127], v[134:135], s[18:19], v[2:3]
	v_fma_f64 v[138:139], v[134:135], s[18:19], v[138:139]
	v_fma_f64 v[2:3], v[146:147], s[2:3], v[144:145]
	v_add_f64 v[152:153], v[150:151], -v[158:159]
	v_fma_f64 v[130:131], v[10:11], s[18:19], v[140:141]
	v_fma_f64 v[134:135], v[10:11], s[18:19], v[0:1]
	v_fma_f64 v[0:1], v[8:9], -0.5, v[4:5]
	v_add_f64 v[4:5], v[180:181], -v[142:143]
	v_add_f64 v[8:9], v[174:175], -v[156:157]
	v_fma_f64 v[10:11], v[146:147], s[10:11], v[144:145]
	v_add_f64 v[140:141], v[148:149], v[174:175]
	v_fma_f64 v[2:3], v[152:153], s[8:9], v[2:3]
	v_add_f64 v[144:145], v[6:7], v[182:183]
	v_add_f64 v[148:149], v[150:151], v[158:159]
	v_fma_f64 v[154:155], v[152:153], s[10:11], v[0:1]
	v_add_f64 v[164:165], v[142:143], -v[180:181]
	v_add_f64 v[172:173], v[156:157], -v[174:175]
	v_add_f64 v[4:5], v[4:5], v[8:9]
	v_fma_f64 v[8:9], v[152:153], s[16:17], v[10:11]
	v_fma_f64 v[0:1], v[152:153], s[2:3], v[0:1]
	v_add_f64 v[10:11], v[144:145], v[150:151]
	v_fma_f64 v[192:193], v[148:149], -0.5, v[6:7]
	v_add_f64 v[174:175], v[180:181], -v[174:175]
	v_fma_f64 v[152:153], v[146:147], s[8:9], v[154:155]
	v_add_f64 v[154:155], v[164:165], v[172:173]
	v_fma_f64 v[144:145], v[4:5], s[18:19], v[2:3]
	v_fma_f64 v[148:149], v[4:5], s[18:19], v[8:9]
	;; [unrolled: 1-line block ×3, first 2 shown]
	v_add_f64 v[4:5], v[182:183], v[176:177]
	v_add_f64 v[2:3], v[10:11], v[158:159]
	v_fma_f64 v[8:9], v[174:175], s[10:11], v[192:193]
	v_add_f64 v[10:11], v[142:143], -v[156:157]
	v_add_f64 v[146:147], v[186:187], v[190:191]
	v_add_f64 v[164:165], v[182:183], -v[150:151]
	v_add_f64 v[172:173], v[176:177], -v[158:159]
	v_fma_f64 v[156:157], v[154:155], s[18:19], v[0:1]
	v_fma_f64 v[0:1], v[4:5], -0.5, v[6:7]
	v_fma_f64 v[152:153], v[154:155], s[18:19], v[152:153]
	v_add_f64 v[142:143], v[2:3], v[176:177]
	v_fma_f64 v[2:3], v[10:11], s[16:17], v[8:9]
	v_add_f64 v[4:5], v[160:161], v[178:179]
	v_fma_f64 v[6:7], v[146:147], -0.5, v[160:161]
	v_add_f64 v[8:9], v[184:185], -v[170:171]
	v_add_f64 v[154:155], v[164:165], v[172:173]
	v_fma_f64 v[146:147], v[174:175], s[2:3], v[192:193]
	v_fma_f64 v[164:165], v[10:11], s[2:3], v[0:1]
	v_add_f64 v[150:151], v[150:151], -v[182:183]
	v_add_f64 v[158:159], v[158:159], -v[176:177]
	v_fma_f64 v[0:1], v[10:11], s[10:11], v[0:1]
	v_add_f64 v[4:5], v[4:5], v[186:187]
	v_fma_f64 v[172:173], v[8:9], s[2:3], v[6:7]
	v_add_f64 v[176:177], v[188:189], -v[166:167]
	v_add_f64 v[180:181], v[178:179], -v[186:187]
	;; [unrolled: 1-line block ×3, first 2 shown]
	v_fma_f64 v[10:11], v[10:11], s[8:9], v[146:147]
	v_fma_f64 v[164:165], v[174:175], s[16:17], v[164:165]
	v_add_f64 v[158:159], v[150:151], v[158:159]
	v_fma_f64 v[0:1], v[174:175], s[8:9], v[0:1]
	v_add_f64 v[192:193], v[178:179], v[168:169]
	v_add_f64 v[4:5], v[4:5], v[190:191]
	v_fma_f64 v[172:173], v[176:177], s[8:9], v[172:173]
	v_add_f64 v[174:175], v[180:181], v[182:183]
	v_fma_f64 v[146:147], v[154:155], s[18:19], v[2:3]
	v_fma_f64 v[150:151], v[154:155], s[18:19], v[10:11]
	;; [unrolled: 1-line block ×4, first 2 shown]
	v_add_f64 v[0:1], v[188:189], v[166:167]
	v_fma_f64 v[2:3], v[192:193], -0.5, v[160:161]
	v_add_f64 v[160:161], v[4:5], v[168:169]
	v_fma_f64 v[164:165], v[174:175], s[18:19], v[172:173]
	v_fma_f64 v[4:5], v[8:9], s[10:11], v[6:7]
	v_add_f64 v[10:11], v[186:187], -v[178:179]
	v_add_f64 v[172:173], v[184:185], v[170:171]
	v_add_f64 v[180:181], v[190:191], -v[168:169]
	v_add_f64 v[182:183], v[162:163], v[184:185]
	v_fma_f64 v[0:1], v[0:1], -0.5, v[162:163]
	v_add_f64 v[168:169], v[178:179], -v[168:169]
	v_fma_f64 v[6:7], v[176:177], s[10:11], v[2:3]
	v_fma_f64 v[4:5], v[176:177], s[16:17], v[4:5]
	v_add_f64 v[178:179], v[186:187], -v[190:191]
	v_fma_f64 v[162:163], v[172:173], -0.5, v[162:163]
	v_add_f64 v[10:11], v[10:11], v[180:181]
	v_fma_f64 v[2:3], v[176:177], s[2:3], v[2:3]
	v_add_f64 v[172:173], v[182:183], v[188:189]
	v_fma_f64 v[176:177], v[168:169], s[10:11], v[0:1]
	v_add_f64 v[180:181], v[184:185], -v[188:189]
	v_add_f64 v[182:183], v[170:171], -v[166:167]
	v_fma_f64 v[0:1], v[168:169], s[2:3], v[0:1]
	v_fma_f64 v[6:7], v[8:9], s[8:9], v[6:7]
	;; [unrolled: 1-line block ×3, first 2 shown]
	v_add_f64 v[184:185], v[188:189], -v[184:185]
	v_add_f64 v[188:189], v[166:167], -v[170:171]
	v_fma_f64 v[162:163], v[178:179], s[10:11], v[162:163]
	v_fma_f64 v[2:3], v[8:9], s[16:17], v[2:3]
	v_add_f64 v[180:181], v[180:181], v[182:183]
	v_fma_f64 v[0:1], v[178:179], s[8:9], v[0:1]
	v_add_f64 v[8:9], v[172:173], v[166:167]
	v_fma_f64 v[166:167], v[178:179], s[16:17], v[176:177]
	v_fma_f64 v[182:183], v[168:169], s[16:17], v[186:187]
	v_add_f64 v[184:185], v[184:185], v[188:189]
	v_fma_f64 v[186:187], v[168:169], s[8:9], v[162:163]
	v_fma_f64 v[176:177], v[174:175], s[18:19], v[4:5]
	;; [unrolled: 1-line block ×4, first 2 shown]
	buffer_load_dword v0, off, s[64:67], 0 offset:16 ; 4-byte Folded Reload
	v_fma_f64 v[172:173], v[10:11], s[18:19], v[2:3]
	v_add_f64 v[162:163], v[8:9], v[170:171]
	v_fma_f64 v[166:167], v[180:181], s[18:19], v[166:167]
	v_fma_f64 v[170:171], v[184:185], s[18:19], v[182:183]
	v_fma_f64 v[174:175], v[184:185], s[18:19], v[186:187]
	s_waitcnt vmcnt(0)
	v_lshl_add_u32 v215, v255, 4, v0
	ds_write_b128 v215, v[120:123]
	ds_write_b128 v215, v[124:127] offset:1632
	ds_write_b128 v215, v[128:131] offset:3264
	;; [unrolled: 1-line block ×14, first 2 shown]
	s_waitcnt lgkmcnt(0)
	s_barrier
	s_and_saveexec_b64 s[8:9], vcc
	s_cbranch_execz .LBB0_13
; %bb.12:
	s_add_u32 s10, s12, 0x1fe0
	s_addc_u32 s11, s13, 0
	v_add_co_u32_e64 v10, s[2:3], s10, v254
	v_mov_b32_e32 v4, s11
	v_addc_co_u32_e64 v11, s[2:3], 0, v4, s[2:3]
	global_load_dwordx4 v[4:7], v254, s[10:11]
	ds_read_b128 v[0:3], v215
	s_movk_i32 s2, 0x1000
	s_waitcnt vmcnt(0) lgkmcnt(0)
	v_mul_f64 v[8:9], v[2:3], v[6:7]
	v_fma_f64 v[180:181], v[0:1], v[4:5], -v[8:9]
	v_mul_f64 v[0:1], v[0:1], v[6:7]
	v_fma_f64 v[182:183], v[2:3], v[4:5], v[0:1]
	global_load_dwordx4 v[4:7], v254, s[10:11] offset:480
	ds_read_b128 v[0:3], v215 offset:480
	ds_write_b128 v215, v[180:183]
	s_waitcnt vmcnt(0) lgkmcnt(1)
	v_mul_f64 v[8:9], v[2:3], v[6:7]
	v_fma_f64 v[180:181], v[0:1], v[4:5], -v[8:9]
	v_mul_f64 v[0:1], v[0:1], v[6:7]
	v_fma_f64 v[182:183], v[2:3], v[4:5], v[0:1]
	global_load_dwordx4 v[4:7], v254, s[10:11] offset:960
	ds_read_b128 v[0:3], v215 offset:960
	ds_write_b128 v215, v[180:183] offset:480
	s_waitcnt vmcnt(0) lgkmcnt(1)
	v_mul_f64 v[8:9], v[2:3], v[6:7]
	v_fma_f64 v[180:181], v[0:1], v[4:5], -v[8:9]
	v_mul_f64 v[0:1], v[0:1], v[6:7]
	v_fma_f64 v[182:183], v[2:3], v[4:5], v[0:1]
	global_load_dwordx4 v[4:7], v254, s[10:11] offset:1440
	ds_read_b128 v[0:3], v215 offset:1440
	ds_write_b128 v215, v[180:183] offset:960
	;; [unrolled: 8-line block ×7, first 2 shown]
	s_waitcnt vmcnt(0) lgkmcnt(1)
	v_mul_f64 v[8:9], v[2:3], v[6:7]
	v_fma_f64 v[180:181], v[0:1], v[4:5], -v[8:9]
	v_mul_f64 v[0:1], v[0:1], v[6:7]
	v_add_co_u32_e64 v8, s[2:3], s2, v10
	v_addc_co_u32_e64 v9, s[2:3], 0, v11, s[2:3]
	v_fma_f64 v[182:183], v[2:3], v[4:5], v[0:1]
	global_load_dwordx4 v[4:7], v[8:9], off offset:224
	ds_read_b128 v[0:3], v215 offset:4320
	ds_write_b128 v215, v[180:183] offset:3840
	s_waitcnt vmcnt(0) lgkmcnt(1)
	v_mul_f64 v[10:11], v[2:3], v[6:7]
	v_fma_f64 v[180:181], v[0:1], v[4:5], -v[10:11]
	v_mul_f64 v[0:1], v[0:1], v[6:7]
	v_fma_f64 v[182:183], v[2:3], v[4:5], v[0:1]
	global_load_dwordx4 v[4:7], v[8:9], off offset:704
	ds_read_b128 v[0:3], v215 offset:4800
	ds_write_b128 v215, v[180:183] offset:4320
	s_waitcnt vmcnt(0) lgkmcnt(1)
	v_mul_f64 v[10:11], v[2:3], v[6:7]
	v_fma_f64 v[180:181], v[0:1], v[4:5], -v[10:11]
	v_mul_f64 v[0:1], v[0:1], v[6:7]
	;; [unrolled: 8-line block ×7, first 2 shown]
	v_fma_f64 v[182:183], v[2:3], v[4:5], v[0:1]
	v_or_b32_e32 v4, 0x1e00, v254
	global_load_dwordx4 v[4:7], v4, s[10:11]
	ds_read_b128 v[0:3], v215 offset:7680
	ds_write_b128 v215, v[180:183] offset:7200
	s_waitcnt vmcnt(0) lgkmcnt(1)
	v_mul_f64 v[8:9], v[2:3], v[6:7]
	v_fma_f64 v[180:181], v[0:1], v[4:5], -v[8:9]
	v_mul_f64 v[0:1], v[0:1], v[6:7]
	v_fma_f64 v[182:183], v[2:3], v[4:5], v[0:1]
	ds_write_b128 v215, v[180:183] offset:7680
.LBB0_13:
	s_or_b64 exec, exec, s[8:9]
	s_waitcnt lgkmcnt(0)
	s_barrier
	s_and_saveexec_b64 s[2:3], vcc
	s_cbranch_execz .LBB0_15
; %bb.14:
	ds_read_b128 v[120:123], v215
	ds_read_b128 v[124:127], v215 offset:480
	ds_read_b128 v[128:131], v215 offset:960
	;; [unrolled: 1-line block ×16, first 2 shown]
.LBB0_15:
	s_or_b64 exec, exec, s[2:3]
	s_waitcnt lgkmcnt(1)
	v_add_f64 v[233:234], v[130:131], v[118:119]
	s_mov_b32 s20, 0x6ed5f1bb
	s_mov_b32 s21, 0xbfe348c8
	s_waitcnt lgkmcnt(0)
	v_add_f64 v[12:13], v[126:127], -v[26:27]
	s_mov_b32 s8, 0x2a9d6da3
	s_mov_b32 s9, 0xbfe58eea
	v_add_f64 v[225:226], v[124:125], v[24:25]
	v_add_f64 v[227:228], v[126:127], v[26:27]
	v_mul_f64 v[10:11], v[233:234], s[20:21]
	v_add_f64 v[14:15], v[130:131], -v[118:119]
	s_mov_b32 s2, 0x75d4884
	v_mul_f64 v[229:230], v[12:13], s[8:9]
	s_mov_b32 s22, 0xeb564b22
	s_mov_b32 s3, 0x3fe7a5f6
	;; [unrolled: 1-line block ×3, first 2 shown]
	v_add_f64 v[241:242], v[124:125], -v[24:25]
	buffer_store_dword v10, off, s[64:67], 0 offset:212 ; 4-byte Folded Spill
	s_nop 0
	buffer_store_dword v11, off, s[64:67], 0 offset:216 ; 4-byte Folded Spill
	v_mul_f64 v[46:47], v[227:228], s[2:3]
	v_add_f64 v[231:232], v[128:129], v[116:117]
	v_fma_f64 v[0:1], v[225:226], s[2:3], -v[229:230]
	v_mul_f64 v[18:19], v[14:15], s[22:23]
	s_mov_b32 s16, 0x7c9e640b
	s_mov_b32 s18, 0x3259b75e
	;; [unrolled: 1-line block ×4, first 2 shown]
	v_fma_f64 v[2:3], v[241:242], s[8:9], v[46:47]
	v_mul_f64 v[77:78], v[12:13], s[16:17]
	v_add_f64 v[0:1], v[120:121], v[0:1]
	v_add_f64 v[50:51], v[128:129], -v[116:117]
	v_mul_f64 v[75:76], v[233:234], s[18:19]
	v_fma_f64 v[8:9], v[231:232], s[18:19], -v[18:19]
	s_mov_b32 s10, 0x2b2883cd
	s_mov_b32 s24, 0x6c9a05f6
	s_mov_b32 s11, 0x3fdc86fa
	s_mov_b32 s25, 0xbfe9895b
	v_add_f64 v[2:3], v[122:123], v[2:3]
	v_mul_f64 v[251:252], v[227:228], s[10:11]
	v_fma_f64 v[4:5], v[225:226], s[10:11], -v[77:78]
	v_add_f64 v[0:1], v[8:9], v[0:1]
	v_fma_f64 v[8:9], v[50:51], s[22:23], v[75:76]
	v_mul_f64 v[249:250], v[14:15], s[24:25]
	v_add_f64 v[16:17], v[134:135], -v[178:179]
	v_add_f64 v[237:238], v[132:133], v[176:177]
	v_add_f64 v[239:240], v[134:135], v[178:179]
	v_fma_f64 v[6:7], v[241:242], s[16:17], v[251:252]
	v_add_f64 v[4:5], v[120:121], v[4:5]
	v_add_f64 v[82:83], v[132:133], -v[176:177]
	v_add_f64 v[2:3], v[8:9], v[2:3]
	v_fma_f64 v[8:9], v[231:232], s[20:21], -v[249:250]
	v_mul_f64 v[73:74], v[16:17], s[24:25]
	s_mov_b32 s46, 0xacd6c6b4
	v_mul_f64 v[22:23], v[239:240], s[20:21]
	v_add_f64 v[6:7], v[122:123], v[6:7]
	s_mov_b32 s47, 0x3fc7851a
	s_mov_b32 s26, 0x7faef3
	;; [unrolled: 1-line block ×3, first 2 shown]
	v_add_f64 v[4:5], v[8:9], v[4:5]
	v_add_f64 v[44:45], v[138:139], -v[174:175]
	s_mov_b32 s31, 0xbfc7851a
	s_mov_b32 s30, s46
	v_add_f64 v[245:246], v[136:137], v[172:173]
	v_add_f64 v[247:248], v[138:139], v[174:175]
	v_add_f64 v[190:191], v[136:137], -v[172:173]
	s_mov_b32 s28, 0xc61f0d01
	s_mov_b32 s29, 0xbfd183b1
	v_mul_f64 v[20:21], v[44:45], s[30:31]
	v_add_f64 v[48:49], v[142:143], -v[170:171]
	v_add_f64 v[188:189], v[140:141], v[168:169]
	v_add_f64 v[192:193], v[142:143], v[170:171]
	v_mul_f64 v[80:81], v[247:248], s[26:27]
	s_mov_b32 s34, 0x910ea3b9
	s_mov_b32 s35, 0xbfeb34fa
	v_add_f64 v[200:201], v[140:141], -v[168:169]
	s_mov_b32 s53, 0x3fe58eea
	v_mul_f64 v[68:69], v[48:49], s[48:49]
	s_mov_b32 s52, s8
	v_mul_f64 v[243:244], v[192:193], s[34:35]
	v_add_f64 v[198:199], v[146:147], v[166:167]
	v_add_f64 v[206:207], v[146:147], -v[166:167]
	v_add_f64 v[196:197], v[144:145], v[164:165]
	v_add_f64 v[208:209], v[144:145], -v[164:165]
	s_mov_b32 s40, 0x5d8e7cdc
	s_mov_b32 s41, 0xbfd71e95
	;; [unrolled: 1-line block ×5, first 2 shown]
	v_mul_f64 v[235:236], v[206:207], s[42:43]
	s_mov_b32 s54, s16
	v_add_f64 v[204:205], v[154:155], v[162:163]
	v_add_f64 v[202:203], v[152:153], v[160:161]
	v_add_f64 v[212:213], v[158:159], -v[150:151]
	s_mov_b32 s57, 0x3fd71e95
	s_mov_b32 s56, s40
	v_add_f64 v[210:211], v[156:157], v[148:149]
	s_mov_b32 s45, 0xbfe0d888
	v_fma_f64 v[8:9], v[50:51], s[24:25], v[10:11]
	v_mul_f64 v[10:11], v[239:240], s[26:27]
	v_mul_f64 v[182:183], v[204:205], s[10:11]
	s_mov_b32 s44, s48
	v_add_f64 v[6:7], v[8:9], v[6:7]
	v_fma_f64 v[8:9], v[237:238], s[20:21], -v[73:74]
	v_add_f64 v[0:1], v[8:9], v[0:1]
	v_fma_f64 v[8:9], v[82:83], s[24:25], v[22:23]
	v_add_f64 v[2:3], v[8:9], v[2:3]
	v_mul_f64 v[8:9], v[16:17], s[46:47]
	buffer_store_dword v8, off, s[64:67], 0 offset:228 ; 4-byte Folded Spill
	s_nop 0
	buffer_store_dword v9, off, s[64:67], 0 offset:232 ; 4-byte Folded Spill
	buffer_store_dword v10, off, s[64:67], 0 offset:236 ; 4-byte Folded Spill
	s_nop 0
	buffer_store_dword v11, off, s[64:67], 0 offset:240 ; 4-byte Folded Spill
	v_fma_f64 v[8:9], v[237:238], s[26:27], -v[8:9]
	v_add_f64 v[4:5], v[8:9], v[4:5]
	v_fma_f64 v[8:9], v[82:83], s[46:47], v[10:11]
	v_mul_f64 v[10:11], v[247:248], s[28:29]
	v_add_f64 v[6:7], v[8:9], v[6:7]
	v_fma_f64 v[8:9], v[245:246], s[26:27], -v[20:21]
	v_add_f64 v[0:1], v[8:9], v[0:1]
	v_fma_f64 v[8:9], v[190:191], s[30:31], v[80:81]
	v_add_f64 v[2:3], v[8:9], v[2:3]
	v_mul_f64 v[8:9], v[44:45], s[42:43]
	buffer_store_dword v8, off, s[64:67], 0 offset:260 ; 4-byte Folded Spill
	s_nop 0
	buffer_store_dword v9, off, s[64:67], 0 offset:264 ; 4-byte Folded Spill
	buffer_store_dword v10, off, s[64:67], 0 offset:268 ; 4-byte Folded Spill
	s_nop 0
	buffer_store_dword v11, off, s[64:67], 0 offset:272 ; 4-byte Folded Spill
	v_fma_f64 v[8:9], v[245:246], s[28:29], -v[8:9]
	v_add_f64 v[4:5], v[8:9], v[4:5]
	v_fma_f64 v[8:9], v[190:191], s[42:43], v[10:11]
	v_mul_f64 v[10:11], v[192:193], s[2:3]
	;; [unrolled: 16-line block ×3, first 2 shown]
	buffer_store_dword v10, off, s[64:67], 0 offset:252 ; 4-byte Folded Spill
	s_nop 0
	buffer_store_dword v11, off, s[64:67], 0 offset:256 ; 4-byte Folded Spill
	v_add_f64 v[6:7], v[8:9], v[6:7]
	v_fma_f64 v[8:9], v[196:197], s[28:29], -v[235:236]
	v_add_f64 v[8:9], v[8:9], v[0:1]
	v_fma_f64 v[0:1], v[208:209], s[42:43], v[10:11]
	v_mul_f64 v[10:11], v[198:199], s[38:39]
	v_add_f64 v[2:3], v[0:1], v[2:3]
	v_mul_f64 v[0:1], v[206:207], s[40:41]
	buffer_store_dword v0, off, s[64:67], 0 offset:300 ; 4-byte Folded Spill
	s_nop 0
	buffer_store_dword v1, off, s[64:67], 0 offset:304 ; 4-byte Folded Spill
	buffer_store_dword v10, off, s[64:67], 0 offset:308 ; 4-byte Folded Spill
	s_nop 0
	buffer_store_dword v11, off, s[64:67], 0 offset:312 ; 4-byte Folded Spill
	v_fma_f64 v[0:1], v[196:197], s[38:39], -v[0:1]
	v_add_f64 v[4:5], v[0:1], v[4:5]
	v_fma_f64 v[0:1], v[208:209], s[40:41], v[10:11]
	v_add_f64 v[10:11], v[0:1], v[6:7]
	v_add_f64 v[0:1], v[154:155], -v[162:163]
	v_add_f64 v[6:7], v[152:153], -v[160:161]
	v_mul_f64 v[180:181], v[0:1], s[54:55]
	buffer_store_dword v180, off, s[64:67], 0 offset:220 ; 4-byte Folded Spill
	s_nop 0
	buffer_store_dword v181, off, s[64:67], 0 offset:224 ; 4-byte Folded Spill
	buffer_store_dword v182, off, s[64:67], 0 offset:284 ; 4-byte Folded Spill
	s_nop 0
	buffer_store_dword v183, off, s[64:67], 0 offset:288 ; 4-byte Folded Spill
	v_fma_f64 v[180:181], v[202:203], s[10:11], -v[180:181]
	v_add_f64 v[8:9], v[180:181], v[8:9]
	v_fma_f64 v[180:181], v[6:7], s[54:55], v[182:183]
	v_add_f64 v[182:183], v[180:181], v[2:3]
	v_mul_f64 v[2:3], v[0:1], s[22:23]
	v_mul_f64 v[180:181], v[204:205], s[18:19]
	buffer_store_dword v2, off, s[64:67], 0 offset:316 ; 4-byte Folded Spill
	s_nop 0
	buffer_store_dword v3, off, s[64:67], 0 offset:320 ; 4-byte Folded Spill
	buffer_store_dword v180, off, s[64:67], 0 offset:332 ; 4-byte Folded Spill
	s_nop 0
	buffer_store_dword v181, off, s[64:67], 0 offset:336 ; 4-byte Folded Spill
	v_fma_f64 v[2:3], v[202:203], s[18:19], -v[2:3]
	v_add_f64 v[184:185], v[2:3], v[4:5]
	v_fma_f64 v[2:3], v[6:7], s[22:23], v[180:181]
	v_add_f64 v[4:5], v[158:159], v[150:151]
	v_mul_f64 v[180:181], v[212:213], s[56:57]
	buffer_store_dword v180, off, s[64:67], 0 offset:244 ; 4-byte Folded Spill
	s_nop 0
	buffer_store_dword v181, off, s[64:67], 0 offset:248 ; 4-byte Folded Spill
	v_mul_f64 v[186:187], v[4:5], s[38:39]
	buffer_store_dword v186, off, s[64:67], 0 offset:324 ; 4-byte Folded Spill
	s_nop 0
	buffer_store_dword v187, off, s[64:67], 0 offset:328 ; 4-byte Folded Spill
	v_add_f64 v[10:11], v[2:3], v[10:11]
	v_add_f64 v[2:3], v[156:157], -v[148:149]
	v_fma_f64 v[180:181], v[210:211], s[38:39], -v[180:181]
	v_add_f64 v[180:181], v[180:181], v[8:9]
	v_fma_f64 v[8:9], v[2:3], s[56:57], v[186:187]
	v_mul_f64 v[186:187], v[4:5], s[34:35]
	v_add_f64 v[182:183], v[8:9], v[182:183]
	v_mul_f64 v[8:9], v[212:213], s[44:45]
	buffer_store_dword v8, off, s[64:67], 0 offset:340 ; 4-byte Folded Spill
	s_nop 0
	buffer_store_dword v9, off, s[64:67], 0 offset:344 ; 4-byte Folded Spill
	buffer_store_dword v186, off, s[64:67], 0 offset:348 ; 4-byte Folded Spill
	s_nop 0
	buffer_store_dword v187, off, s[64:67], 0 offset:352 ; 4-byte Folded Spill
	s_waitcnt vmcnt(0)
	s_barrier
	v_fma_f64 v[8:9], v[210:211], s[34:35], -v[8:9]
	v_add_f64 v[184:185], v[8:9], v[184:185]
	v_fma_f64 v[8:9], v[2:3], s[44:45], v[186:187]
	v_add_f64 v[186:187], v[8:9], v[10:11]
	s_and_saveexec_b64 s[36:37], vcc
	s_cbranch_execz .LBB0_17
; %bb.16:
	v_mul_f64 v[8:9], v[241:242], s[30:31]
	v_mul_f64 v[10:11], v[12:13], s[30:31]
	buffer_store_dword v216, off, s[64:67], 0 offset:356 ; 4-byte Folded Spill
	s_nop 0
	buffer_store_dword v217, off, s[64:67], 0 offset:360 ; 4-byte Folded Spill
	buffer_store_dword v218, off, s[64:67], 0 offset:364 ; 4-byte Folded Spill
	;; [unrolled: 1-line block ×4, first 2 shown]
	s_nop 0
	buffer_store_dword v221, off, s[64:67], 0 offset:392 ; 4-byte Folded Spill
	buffer_store_dword v222, off, s[64:67], 0 offset:396 ; 4-byte Folded Spill
	;; [unrolled: 1-line block ×4, first 2 shown]
	s_nop 0
	buffer_store_dword v230, off, s[64:67], 0 offset:456 ; 4-byte Folded Spill
	buffer_store_dword v235, off, s[64:67], 0 offset:420 ; 4-byte Folded Spill
	s_nop 0
	buffer_store_dword v236, off, s[64:67], 0 offset:424 ; 4-byte Folded Spill
	v_mul_f64 v[216:217], v[50:51], s[56:57]
	v_mul_f64 v[229:230], v[14:15], s[56:57]
	v_fma_f64 v[220:221], v[227:228], s[26:27], v[8:9]
	v_fma_f64 v[235:236], v[225:226], s[26:27], -v[10:11]
	buffer_store_dword v243, off, s[64:67], 0 offset:436 ; 4-byte Folded Spill
	s_nop 0
	buffer_store_dword v244, off, s[64:67], 0 offset:440 ; 4-byte Folded Spill
	buffer_store_dword v46, off, s[64:67], 0 offset:484 ; 4-byte Folded Spill
	s_nop 0
	buffer_store_dword v47, off, s[64:67], 0 offset:488 ; 4-byte Folded Spill
	;; [unrolled: 3-line block ×4, first 2 shown]
	v_mov_b32_e32 v47, v13
	v_mov_b32_e32 v252, v15
	;; [unrolled: 1-line block ×3, first 2 shown]
	buffer_store_dword v18, off, s[64:67], 0 offset:444 ; 4-byte Folded Spill
	s_nop 0
	buffer_store_dword v19, off, s[64:67], 0 offset:448 ; 4-byte Folded Spill
	v_mul_f64 v[253:254], v[82:83], s[44:45]
	v_mov_b32_e32 v46, v12
	v_fma_f64 v[12:13], v[233:234], s[38:39], v[216:217]
	v_fma_f64 v[8:9], v[227:228], s[26:27], -v[8:9]
	v_mov_b32_e32 v251, v14
	v_add_f64 v[14:15], v[122:123], v[220:221]
	v_mul_f64 v[220:221], v[16:17], s[44:45]
	v_mov_b32_e32 v249, v16
	v_fma_f64 v[16:17], v[231:232], s[38:39], -v[229:230]
	v_add_f64 v[18:19], v[120:121], v[235:236]
	buffer_store_dword v20, off, s[64:67], 0 offset:428 ; 4-byte Folded Spill
	s_nop 0
	buffer_store_dword v21, off, s[64:67], 0 offset:432 ; 4-byte Folded Spill
	buffer_store_dword v22, off, s[64:67], 0 offset:460 ; 4-byte Folded Spill
	s_nop 0
	buffer_store_dword v23, off, s[64:67], 0 offset:464 ; 4-byte Folded Spill
	v_mul_f64 v[243:244], v[190:191], s[52:53]
	v_fma_f64 v[20:21], v[239:240], s[34:35], v[253:254]
	v_fma_f64 v[22:23], v[233:234], s[38:39], -v[216:217]
	v_add_f64 v[8:9], v[122:123], v[8:9]
	v_add_f64 v[12:13], v[12:13], v[14:15]
	v_mul_f64 v[14:15], v[44:45], s[52:53]
	v_fma_f64 v[216:217], v[237:238], s[34:35], -v[220:221]
	v_add_f64 v[16:17], v[16:17], v[18:19]
	buffer_store_dword v24, off, s[64:67], 0 ; 4-byte Folded Spill
	s_nop 0
	buffer_store_dword v25, off, s[64:67], 0 offset:4 ; 4-byte Folded Spill
	buffer_store_dword v26, off, s[64:67], 0 offset:8 ; 4-byte Folded Spill
	buffer_store_dword v27, off, s[64:67], 0 offset:12 ; 4-byte Folded Spill
	v_mul_f64 v[222:223], v[200:201], s[24:25]
	v_mul_f64 v[18:19], v[48:49], s[24:25]
	v_fma_f64 v[24:25], v[247:248], s[2:3], v[243:244]
	v_fma_f64 v[26:27], v[239:240], s[34:35], -v[253:254]
	v_add_f64 v[8:9], v[22:23], v[8:9]
	v_add_f64 v[12:13], v[20:21], v[12:13]
	v_fma_f64 v[22:23], v[245:246], s[2:3], -v[14:15]
	v_add_f64 v[16:17], v[216:217], v[16:17]
	v_mul_f64 v[218:219], v[208:209], s[54:55]
	v_mul_f64 v[235:236], v[206:207], s[54:55]
	v_fma_f64 v[253:254], v[192:193], s[20:21], v[222:223]
	v_fma_f64 v[243:244], v[247:248], s[2:3], -v[243:244]
	v_add_f64 v[8:9], v[26:27], v[8:9]
	v_add_f64 v[12:13], v[24:25], v[12:13]
	v_fma_f64 v[26:27], v[188:189], s[20:21], -v[18:19]
	v_add_f64 v[16:17], v[22:23], v[16:17]
	s_mov_b32 s51, 0xbfeec746
	s_mov_b32 s50, s42
	v_mul_f64 v[216:217], v[6:7], s[50:51]
	v_mul_f64 v[24:25], v[0:1], s[50:51]
	v_fma_f64 v[22:23], v[198:199], s[10:11], v[218:219]
	v_fma_f64 v[222:223], v[192:193], s[20:21], -v[222:223]
	v_fma_f64 v[10:11], v[225:226], s[26:27], v[10:11]
	v_add_f64 v[8:9], v[243:244], v[8:9]
	v_add_f64 v[12:13], v[253:254], v[12:13]
	v_fma_f64 v[243:244], v[196:197], s[10:11], -v[235:236]
	v_add_f64 v[16:17], v[26:27], v[16:17]
	s_mov_b32 s59, 0x3fefdd0d
	s_mov_b32 s58, s22
	v_mul_f64 v[20:21], v[2:3], s[58:59]
	v_fma_f64 v[26:27], v[231:232], s[38:39], v[229:230]
	v_fma_f64 v[229:230], v[204:205], s[28:29], v[216:217]
	v_add_f64 v[10:11], v[120:121], v[10:11]
	v_add_f64 v[8:9], v[222:223], v[8:9]
	;; [unrolled: 1-line block ×3, first 2 shown]
	v_mul_f64 v[22:23], v[212:213], s[58:59]
	v_fma_f64 v[222:223], v[202:203], s[28:29], -v[24:25]
	v_add_f64 v[16:17], v[243:244], v[16:17]
	v_fma_f64 v[218:219], v[198:199], s[10:11], -v[218:219]
	v_fma_f64 v[243:244], v[4:5], s[18:19], v[20:21]
	v_fma_f64 v[220:221], v[237:238], s[34:35], v[220:221]
	v_add_f64 v[10:11], v[26:27], v[10:11]
	v_add_f64 v[12:13], v[229:230], v[12:13]
	v_fma_f64 v[26:27], v[210:211], s[18:19], -v[22:23]
	v_fma_f64 v[216:217], v[204:205], s[28:29], -v[216:217]
	v_add_f64 v[16:17], v[222:223], v[16:17]
	v_add_f64 v[8:9], v[218:219], v[8:9]
	v_fma_f64 v[20:21], v[4:5], s[18:19], -v[20:21]
	v_fma_f64 v[14:15], v[245:246], s[2:3], v[14:15]
	v_add_f64 v[10:11], v[220:221], v[10:11]
	v_add_f64 v[222:223], v[243:244], v[12:13]
	v_mul_f64 v[218:219], v[241:242], s[44:45]
	v_fma_f64 v[12:13], v[188:189], s[20:21], v[18:19]
	v_add_f64 v[220:221], v[26:27], v[16:17]
	v_add_f64 v[8:9], v[216:217], v[8:9]
	buffer_store_dword v220, off, s[64:67], 0 offset:404 ; 4-byte Folded Spill
	s_nop 0
	buffer_store_dword v221, off, s[64:67], 0 offset:408 ; 4-byte Folded Spill
	buffer_store_dword v222, off, s[64:67], 0 offset:412 ; 4-byte Folded Spill
	;; [unrolled: 1-line block ×4, first 2 shown]
	s_nop 0
	buffer_store_dword v78, off, s[64:67], 0 offset:544 ; 4-byte Folded Spill
	v_mul_f64 v[16:17], v[50:51], s[54:55]
	v_fma_f64 v[18:19], v[227:228], s[34:35], v[218:219]
	v_add_f64 v[10:11], v[14:15], v[10:11]
	v_add_f64 v[77:78], v[20:21], v[8:9]
	v_mul_f64 v[8:9], v[46:47], s[44:45]
	v_fma_f64 v[14:15], v[202:203], s[28:29], v[24:25]
	v_mul_f64 v[24:25], v[82:83], s[22:23]
	s_mov_b32 s61, 0x3fe9895b
	v_fma_f64 v[26:27], v[233:234], s[10:11], v[16:17]
	v_add_f64 v[18:19], v[122:123], v[18:19]
	v_add_f64 v[10:11], v[12:13], v[10:11]
	v_mul_f64 v[12:13], v[251:252], s[54:55]
	v_fma_f64 v[216:217], v[225:226], s[34:35], -v[8:9]
	s_mov_b32 s60, s24
	v_fma_f64 v[20:21], v[196:197], s[10:11], v[235:236]
	v_mul_f64 v[220:221], v[190:191], s[60:61]
	v_fma_f64 v[222:223], v[239:240], s[18:19], v[24:25]
	v_add_f64 v[18:19], v[26:27], v[18:19]
	v_mul_f64 v[26:27], v[249:250], s[22:23]
	v_fma_f64 v[229:230], v[231:232], s[10:11], -v[12:13]
	v_add_f64 v[216:217], v[120:121], v[216:217]
	v_fma_f64 v[8:9], v[225:226], s[34:35], v[8:9]
	v_add_f64 v[10:11], v[20:21], v[10:11]
	v_fma_f64 v[20:21], v[210:211], s[18:19], v[22:23]
	v_mul_f64 v[22:23], v[200:201], s[40:41]
	v_fma_f64 v[235:236], v[247:248], s[20:21], v[220:221]
	v_add_f64 v[18:19], v[222:223], v[18:19]
	v_mul_f64 v[222:223], v[44:45], s[60:61]
	v_fma_f64 v[243:244], v[237:238], s[18:19], -v[26:27]
	v_add_f64 v[216:217], v[229:230], v[216:217]
	v_add_f64 v[10:11], v[14:15], v[10:11]
	v_fma_f64 v[14:15], v[227:228], s[34:35], -v[218:219]
	v_mul_f64 v[218:219], v[208:209], s[30:31]
	v_fma_f64 v[229:230], v[192:193], s[38:39], v[22:23]
	v_add_f64 v[18:19], v[235:236], v[18:19]
	v_mul_f64 v[235:236], v[48:49], s[40:41]
	v_fma_f64 v[253:254], v[245:246], s[20:21], -v[222:223]
	v_add_f64 v[216:217], v[243:244], v[216:217]
	buffer_store_dword v28, off, s[64:67], 0 offset:372 ; 4-byte Folded Spill
	s_nop 0
	buffer_store_dword v29, off, s[64:67], 0 offset:376 ; 4-byte Folded Spill
	buffer_store_dword v30, off, s[64:67], 0 offset:380 ; 4-byte Folded Spill
	;; [unrolled: 1-line block ×3, first 2 shown]
	v_fma_f64 v[16:17], v[233:234], s[10:11], -v[16:17]
	v_add_f64 v[14:15], v[122:123], v[14:15]
	v_fma_f64 v[28:29], v[198:199], s[26:27], v[218:219]
	v_add_f64 v[18:19], v[229:230], v[18:19]
	v_mul_f64 v[30:31], v[206:207], s[30:31]
	v_fma_f64 v[229:230], v[188:189], s[38:39], -v[235:236]
	v_add_f64 v[216:217], v[253:254], v[216:217]
	v_fma_f64 v[12:13], v[231:232], s[10:11], v[12:13]
	v_add_f64 v[8:9], v[120:121], v[8:9]
	v_add_f64 v[14:15], v[16:17], v[14:15]
	v_mul_f64 v[16:17], v[6:7], s[52:53]
	v_fma_f64 v[24:25], v[239:240], s[18:19], -v[24:25]
	v_add_f64 v[18:19], v[28:29], v[18:19]
	v_fma_f64 v[28:29], v[196:197], s[26:27], -v[30:31]
	v_add_f64 v[216:217], v[229:230], v[216:217]
	v_mul_f64 v[229:230], v[0:1], s[52:53]
	v_fma_f64 v[26:27], v[237:238], s[18:19], v[26:27]
	v_add_f64 v[8:9], v[12:13], v[8:9]
	v_mul_f64 v[243:244], v[2:3], s[50:51]
	v_fma_f64 v[12:13], v[204:205], s[2:3], v[16:17]
	v_add_f64 v[14:15], v[24:25], v[14:15]
	v_fma_f64 v[220:221], v[247:248], s[20:21], -v[220:221]
	v_add_f64 v[28:29], v[28:29], v[216:217]
	v_fma_f64 v[216:217], v[202:203], s[2:3], -v[229:230]
	v_fma_f64 v[222:223], v[245:246], s[20:21], v[222:223]
	v_add_f64 v[8:9], v[26:27], v[8:9]
	buffer_store_dword v75, off, s[64:67], 0 offset:564 ; 4-byte Folded Spill
	s_nop 0
	buffer_store_dword v76, off, s[64:67], 0 offset:568 ; 4-byte Folded Spill
	v_add_f64 v[75:76], v[20:21], v[10:11]
	v_mul_f64 v[24:25], v[212:213], s[50:51]
	v_fma_f64 v[26:27], v[4:5], s[28:29], v[243:244]
	v_add_f64 v[12:13], v[12:13], v[18:19]
	v_fma_f64 v[18:19], v[192:193], s[38:39], -v[22:23]
	v_add_f64 v[14:15], v[220:221], v[14:15]
	v_add_f64 v[28:29], v[216:217], v[28:29]
	v_fma_f64 v[216:217], v[188:189], s[38:39], v[235:236]
	v_add_f64 v[8:9], v[222:223], v[8:9]
	buffer_store_dword v75, off, s[64:67], 0 offset:468 ; 4-byte Folded Spill
	s_nop 0
	buffer_store_dword v76, off, s[64:67], 0 offset:472 ; 4-byte Folded Spill
	buffer_store_dword v77, off, s[64:67], 0 offset:476 ; 4-byte Folded Spill
	;; [unrolled: 1-line block ×3, first 2 shown]
	v_fma_f64 v[22:23], v[210:211], s[28:29], -v[24:25]
	v_fma_f64 v[10:11], v[198:199], s[26:27], -v[218:219]
	v_add_f64 v[77:78], v[26:27], v[12:13]
	v_add_f64 v[14:15], v[18:19], v[14:15]
	v_fma_f64 v[12:13], v[196:197], s[26:27], v[30:31]
	v_fma_f64 v[16:17], v[204:205], s[2:3], -v[16:17]
	v_add_f64 v[8:9], v[216:217], v[8:9]
	v_mul_f64 v[20:21], v[241:242], s[24:25]
	v_add_f64 v[75:76], v[22:23], v[28:29]
	v_fma_f64 v[28:29], v[202:203], s[2:3], v[229:230]
	v_fma_f64 v[24:25], v[210:211], s[28:29], v[24:25]
	v_add_f64 v[10:11], v[10:11], v[14:15]
	v_fma_f64 v[14:15], v[4:5], s[28:29], -v[243:244]
	v_mul_f64 v[18:19], v[50:51], s[42:43]
	v_add_f64 v[8:9], v[12:13], v[8:9]
	v_fma_f64 v[22:23], v[227:228], s[20:21], v[20:21]
	v_mul_f64 v[26:27], v[46:47], s[24:25]
	v_mul_f64 v[12:13], v[82:83], s[40:41]
	buffer_store_dword v75, off, s[64:67], 0 offset:492 ; 4-byte Folded Spill
	s_nop 0
	buffer_store_dword v76, off, s[64:67], 0 offset:496 ; 4-byte Folded Spill
	buffer_store_dword v77, off, s[64:67], 0 offset:500 ; 4-byte Folded Spill
	;; [unrolled: 1-line block ×3, first 2 shown]
	v_add_f64 v[10:11], v[16:17], v[10:11]
	v_mul_f64 v[16:17], v[251:252], s[42:43]
	v_fma_f64 v[30:31], v[233:234], s[28:29], v[18:19]
	v_add_f64 v[8:9], v[28:29], v[8:9]
	v_add_f64 v[22:23], v[122:123], v[22:23]
	v_fma_f64 v[216:217], v[225:226], s[20:21], -v[26:27]
	v_mul_f64 v[28:29], v[190:191], s[44:45]
	v_fma_f64 v[218:219], v[239:240], s[38:39], v[12:13]
	v_add_f64 v[10:11], v[14:15], v[10:11]
	v_fma_f64 v[220:221], v[231:232], s[28:29], -v[16:17]
	v_fma_f64 v[18:19], v[233:234], s[28:29], -v[18:19]
	v_add_f64 v[8:9], v[24:25], v[8:9]
	buffer_store_dword v8, off, s[64:67], 0 offset:516 ; 4-byte Folded Spill
	s_nop 0
	buffer_store_dword v9, off, s[64:67], 0 offset:520 ; 4-byte Folded Spill
	buffer_store_dword v10, off, s[64:67], 0 offset:524 ; 4-byte Folded Spill
	;; [unrolled: 1-line block ×3, first 2 shown]
	v_add_f64 v[22:23], v[30:31], v[22:23]
	v_mul_f64 v[30:31], v[249:250], s[40:41]
	v_add_f64 v[216:217], v[120:121], v[216:217]
	v_fma_f64 v[8:9], v[227:228], s[20:21], -v[20:21]
	v_mul_f64 v[10:11], v[200:201], s[58:59]
	v_fma_f64 v[14:15], v[247:248], s[34:35], v[28:29]
	v_fma_f64 v[12:13], v[239:240], s[38:39], -v[12:13]
	v_fma_f64 v[28:29], v[247:248], s[34:35], -v[28:29]
	v_add_f64 v[20:21], v[218:219], v[22:23]
	v_fma_f64 v[22:23], v[237:238], s[38:39], -v[30:31]
	v_add_f64 v[24:25], v[220:221], v[216:217]
	v_mul_f64 v[216:217], v[44:45], s[44:45]
	v_add_f64 v[8:9], v[122:123], v[8:9]
	v_mul_f64 v[218:219], v[208:209], s[8:9]
	v_fma_f64 v[220:221], v[192:193], s[18:19], v[10:11]
	v_fma_f64 v[10:11], v[192:193], s[18:19], -v[10:11]
	v_add_f64 v[14:15], v[14:15], v[20:21]
	v_mul_f64 v[20:21], v[48:49], s[58:59]
	v_add_f64 v[22:23], v[22:23], v[24:25]
	v_fma_f64 v[24:25], v[245:246], s[34:35], -v[216:217]
	v_add_f64 v[8:9], v[18:19], v[8:9]
	v_mul_f64 v[18:19], v[6:7], s[30:31]
	v_fma_f64 v[26:27], v[225:226], s[20:21], v[26:27]
	v_fma_f64 v[16:17], v[231:232], s[28:29], v[16:17]
	v_add_f64 v[14:15], v[220:221], v[14:15]
	v_fma_f64 v[220:221], v[198:199], s[2:3], v[218:219]
	v_fma_f64 v[218:219], v[198:199], s[2:3], -v[218:219]
	v_add_f64 v[22:23], v[24:25], v[22:23]
	v_fma_f64 v[24:25], v[188:189], s[18:19], -v[20:21]
	v_add_f64 v[8:9], v[12:13], v[8:9]
	v_mul_f64 v[12:13], v[206:207], s[8:9]
	v_add_f64 v[26:27], v[120:121], v[26:27]
	v_fma_f64 v[20:21], v[188:189], s[18:19], v[20:21]
	v_add_f64 v[14:15], v[220:221], v[14:15]
	v_fma_f64 v[220:221], v[204:205], s[26:27], v[18:19]
	v_fma_f64 v[18:19], v[204:205], s[26:27], -v[18:19]
	v_add_f64 v[22:23], v[24:25], v[22:23]
	v_add_f64 v[8:9], v[28:29], v[8:9]
	v_fma_f64 v[24:25], v[196:197], s[2:3], -v[12:13]
	v_mul_f64 v[28:29], v[0:1], s[30:31]
	v_add_f64 v[16:17], v[16:17], v[26:27]
	v_mul_f64 v[26:27], v[241:242], s[50:51]
	v_add_f64 v[14:15], v[220:221], v[14:15]
	v_mul_f64 v[220:221], v[2:3], s[54:55]
	v_fma_f64 v[12:13], v[196:197], s[2:3], v[12:13]
	v_add_f64 v[8:9], v[10:11], v[8:9]
	v_add_f64 v[22:23], v[24:25], v[22:23]
	v_fma_f64 v[24:25], v[202:203], s[26:27], -v[28:29]
	v_mul_f64 v[10:11], v[212:213], s[54:55]
	v_fma_f64 v[28:29], v[202:203], s[26:27], v[28:29]
	v_mul_f64 v[229:230], v[206:207], s[44:45]
	v_mul_f64 v[235:236], v[0:1], s[60:61]
	;; [unrolled: 1-line block ×3, first 2 shown]
	v_add_f64 v[8:9], v[218:219], v[8:9]
	v_mul_f64 v[253:254], v[188:189], s[34:35]
	v_add_f64 v[22:23], v[24:25], v[22:23]
	v_fma_f64 v[24:25], v[4:5], s[10:11], v[220:221]
	v_fma_f64 v[218:219], v[210:211], s[10:11], -v[10:11]
	v_fma_f64 v[10:11], v[210:211], s[10:11], v[10:11]
	v_add_f64 v[126:127], v[122:123], v[126:127]
	v_add_f64 v[124:125], v[120:121], v[124:125]
	;; [unrolled: 1-line block ×3, first 2 shown]
	v_fma_f64 v[18:19], v[245:246], s[34:35], v[216:217]
	v_fma_f64 v[216:217], v[4:5], s[10:11], -v[220:221]
	v_add_f64 v[24:25], v[24:25], v[14:15]
	v_add_f64 v[22:23], v[218:219], v[22:23]
	buffer_store_dword v22, off, s[64:67], 0 offset:548 ; 4-byte Folded Spill
	s_nop 0
	buffer_store_dword v23, off, s[64:67], 0 offset:552 ; 4-byte Folded Spill
	buffer_store_dword v24, off, s[64:67], 0 offset:556 ; 4-byte Folded Spill
	;; [unrolled: 1-line block ×3, first 2 shown]
	v_fma_f64 v[14:15], v[237:238], s[38:39], v[30:31]
	v_mul_f64 v[22:23], v[50:51], s[48:49]
	v_fma_f64 v[24:25], v[227:228], s[28:29], v[26:27]
	v_add_f64 v[77:78], v[216:217], v[8:9]
	v_fma_f64 v[26:27], v[227:228], s[28:29], -v[26:27]
	v_add_f64 v[126:127], v[126:127], v[130:131]
	v_add_f64 v[124:125], v[124:125], v[128:129]
	;; [unrolled: 1-line block ×3, first 2 shown]
	v_mul_f64 v[16:17], v[82:83], s[52:53]
	v_fma_f64 v[30:31], v[233:234], s[34:35], v[22:23]
	v_add_f64 v[24:25], v[122:123], v[24:25]
	v_fma_f64 v[22:23], v[233:234], s[34:35], -v[22:23]
	v_add_f64 v[26:27], v[122:123], v[26:27]
	v_add_f64 v[124:125], v[124:125], v[132:133]
	;; [unrolled: 1-line block ×4, first 2 shown]
	v_fma_f64 v[18:19], v[239:240], s[2:3], v[16:17]
	v_fma_f64 v[16:17], v[239:240], s[2:3], -v[16:17]
	v_add_f64 v[24:25], v[30:31], v[24:25]
	v_mul_f64 v[30:31], v[190:191], s[16:17]
	v_add_f64 v[22:23], v[22:23], v[26:27]
	v_add_f64 v[124:125], v[124:125], v[136:137]
	;; [unrolled: 1-line block ×3, first 2 shown]
	v_mul_f64 v[20:21], v[200:201], s[30:31]
	v_add_f64 v[18:19], v[18:19], v[24:25]
	v_fma_f64 v[24:25], v[247:248], s[10:11], v[30:31]
	v_add_f64 v[16:17], v[16:17], v[22:23]
	v_add_f64 v[12:13], v[12:13], v[14:15]
	v_fma_f64 v[14:15], v[192:193], s[26:27], v[20:21]
	v_fma_f64 v[20:21], v[192:193], s[26:27], -v[20:21]
	v_add_f64 v[18:19], v[24:25], v[18:19]
	v_mul_f64 v[24:25], v[208:209], s[58:59]
	v_add_f64 v[12:13], v[28:29], v[12:13]
	v_mul_f64 v[28:29], v[6:7], s[40:41]
	v_add_f64 v[14:15], v[14:15], v[18:19]
	v_fma_f64 v[18:19], v[198:199], s[18:19], v[24:25]
	v_fma_f64 v[24:25], v[198:199], s[18:19], -v[24:25]
	v_add_f64 v[75:76], v[10:11], v[12:13]
	v_fma_f64 v[8:9], v[204:205], s[38:39], v[28:29]
	v_mul_f64 v[12:13], v[46:47], s[50:51]
	buffer_store_dword v75, off, s[64:67], 0 offset:572 ; 4-byte Folded Spill
	s_nop 0
	buffer_store_dword v76, off, s[64:67], 0 offset:576 ; 4-byte Folded Spill
	buffer_store_dword v77, off, s[64:67], 0 offset:580 ; 4-byte Folded Spill
	;; [unrolled: 1-line block ×3, first 2 shown]
	v_add_f64 v[10:11], v[18:19], v[14:15]
	v_mul_f64 v[14:15], v[251:252], s[48:49]
	v_fma_f64 v[28:29], v[204:205], s[38:39], -v[28:29]
	buffer_store_dword v46, off, s[64:67], 0 offset:636 ; 4-byte Folded Spill
	s_nop 0
	buffer_store_dword v47, off, s[64:67], 0 offset:640 ; 4-byte Folded Spill
	buffer_store_dword v251, off, s[64:67], 0 offset:628 ; 4-byte Folded Spill
	s_nop 0
	buffer_store_dword v252, off, s[64:67], 0 offset:632 ; 4-byte Folded Spill
	v_add_f64 v[8:9], v[8:9], v[10:11]
	v_fma_f64 v[10:11], v[225:226], s[28:29], -v[12:13]
	v_fma_f64 v[18:19], v[231:232], s[34:35], -v[14:15]
	v_fma_f64 v[12:13], v[225:226], s[28:29], v[12:13]
	v_fma_f64 v[14:15], v[231:232], s[34:35], v[14:15]
	v_add_f64 v[10:11], v[120:121], v[10:11]
	v_add_f64 v[12:13], v[120:121], v[12:13]
	;; [unrolled: 1-line block ×3, first 2 shown]
	v_mul_f64 v[18:19], v[249:250], s[52:53]
	v_add_f64 v[12:13], v[14:15], v[12:13]
	buffer_store_dword v249, off, s[64:67], 0 offset:620 ; 4-byte Folded Spill
	s_nop 0
	buffer_store_dword v250, off, s[64:67], 0 offset:624 ; 4-byte Folded Spill
	v_fma_f64 v[216:217], v[237:238], s[2:3], -v[18:19]
	v_fma_f64 v[14:15], v[237:238], s[2:3], v[18:19]
	v_fma_f64 v[18:19], v[247:248], s[10:11], -v[30:31]
	v_add_f64 v[10:11], v[216:217], v[10:11]
	v_mul_f64 v[216:217], v[44:45], s[16:17]
	v_add_f64 v[12:13], v[14:15], v[12:13]
	v_mul_f64 v[14:15], v[206:207], s[58:59]
	v_add_f64 v[16:17], v[18:19], v[16:17]
	v_fma_f64 v[218:219], v[245:246], s[10:11], -v[216:217]
	v_fma_f64 v[22:23], v[245:246], s[10:11], v[216:217]
	v_fma_f64 v[18:19], v[196:197], s[18:19], -v[14:15]
	v_add_f64 v[16:17], v[20:21], v[16:17]
	v_fma_f64 v[14:15], v[196:197], s[18:19], v[14:15]
	v_add_f64 v[10:11], v[218:219], v[10:11]
	v_mul_f64 v[218:219], v[48:49], s[30:31]
	v_add_f64 v[12:13], v[22:23], v[12:13]
	v_mul_f64 v[22:23], v[0:1], s[40:41]
	;; [unrolled: 2-line block ×3, first 2 shown]
	v_fma_f64 v[220:221], v[188:189], s[26:27], -v[218:219]
	v_fma_f64 v[26:27], v[188:189], s[26:27], v[218:219]
	v_fma_f64 v[20:21], v[202:203], s[38:39], -v[22:23]
	v_add_f64 v[16:17], v[28:29], v[16:17]
	v_add_f64 v[10:11], v[220:221], v[10:11]
	;; [unrolled: 1-line block ×3, first 2 shown]
	v_mul_f64 v[26:27], v[212:213], s[24:25]
	v_mul_f64 v[28:29], v[251:252], s[30:31]
	v_add_f64 v[10:11], v[18:19], v[10:11]
	v_mul_f64 v[18:19], v[2:3], s[24:25]
	v_add_f64 v[12:13], v[14:15], v[12:13]
	v_fma_f64 v[24:25], v[210:211], s[20:21], -v[26:27]
	v_mul_f64 v[14:15], v[241:242], s[22:23]
	v_fma_f64 v[30:31], v[231:232], s[26:27], -v[28:29]
	v_add_f64 v[10:11], v[20:21], v[10:11]
	v_fma_f64 v[20:21], v[4:5], s[20:21], v[18:19]
	v_fma_f64 v[18:19], v[4:5], s[20:21], -v[18:19]
	v_add_f64 v[75:76], v[24:25], v[10:11]
	v_add_f64 v[77:78], v[20:21], v[8:9]
	v_fma_f64 v[8:9], v[202:203], s[38:39], v[22:23]
	v_fma_f64 v[22:23], v[210:211], s[20:21], v[26:27]
	v_mul_f64 v[10:11], v[50:51], s[30:31]
	v_fma_f64 v[20:21], v[227:228], s[18:19], v[14:15]
	v_add_f64 v[18:19], v[18:19], v[16:17]
	buffer_store_dword v75, off, s[64:67], 0 offset:588 ; 4-byte Folded Spill
	s_nop 0
	buffer_store_dword v76, off, s[64:67], 0 offset:592 ; 4-byte Folded Spill
	buffer_store_dword v77, off, s[64:67], 0 offset:596 ; 4-byte Folded Spill
	;; [unrolled: 1-line block ×3, first 2 shown]
	v_add_f64 v[8:9], v[8:9], v[12:13]
	v_mul_f64 v[12:13], v[82:83], s[42:43]
	v_fma_f64 v[24:25], v[233:234], s[26:27], v[10:11]
	v_add_f64 v[20:21], v[122:123], v[20:21]
	v_fma_f64 v[14:15], v[227:228], s[18:19], -v[14:15]
	v_fma_f64 v[10:11], v[233:234], s[26:27], -v[10:11]
	v_add_f64 v[16:17], v[22:23], v[8:9]
	buffer_store_dword v16, off, s[64:67], 0 offset:604 ; 4-byte Folded Spill
	s_nop 0
	buffer_store_dword v17, off, s[64:67], 0 offset:608 ; 4-byte Folded Spill
	buffer_store_dword v18, off, s[64:67], 0 offset:612 ; 4-byte Folded Spill
	;; [unrolled: 1-line block ×3, first 2 shown]
	v_mul_f64 v[8:9], v[190:191], s[56:57]
	v_fma_f64 v[16:17], v[239:240], s[28:29], v[12:13]
	v_add_f64 v[18:19], v[24:25], v[20:21]
	v_add_f64 v[14:15], v[122:123], v[14:15]
	v_fma_f64 v[12:13], v[239:240], s[28:29], -v[12:13]
	v_fma_f64 v[20:21], v[247:248], s[38:39], v[8:9]
	v_fma_f64 v[8:9], v[247:248], s[38:39], -v[8:9]
	v_add_f64 v[16:17], v[16:17], v[18:19]
	v_mul_f64 v[18:19], v[200:201], s[16:17]
	v_add_f64 v[10:11], v[10:11], v[14:15]
	v_fma_f64 v[14:15], v[4:5], s[2:3], -v[243:244]
	v_add_f64 v[16:17], v[20:21], v[16:17]
	v_fma_f64 v[20:21], v[192:193], s[10:11], v[18:19]
	v_add_f64 v[10:11], v[12:13], v[10:11]
	v_fma_f64 v[12:13], v[231:232], s[26:27], v[28:29]
	v_add_f64 v[16:17], v[20:21], v[16:17]
	v_mul_f64 v[20:21], v[208:209], s[44:45]
	v_add_f64 v[8:9], v[8:9], v[10:11]
	v_fma_f64 v[10:11], v[192:193], s[10:11], -v[18:19]
	buffer_load_dword v18, off, s[64:67], 0 offset:532 ; 4-byte Folded Reload
	buffer_load_dword v19, off, s[64:67], 0 offset:536 ; 4-byte Folded Reload
	v_fma_f64 v[22:23], v[198:199], s[34:35], v[20:21]
	v_add_f64 v[8:9], v[10:11], v[8:9]
	v_fma_f64 v[10:11], v[198:199], s[34:35], -v[20:21]
	v_mul_f64 v[20:21], v[50:51], s[24:25]
	v_add_f64 v[16:17], v[22:23], v[16:17]
	v_mul_f64 v[22:23], v[6:7], s[60:61]
	v_add_f64 v[8:9], v[10:11], v[8:9]
	v_fma_f64 v[24:25], v[204:205], s[20:21], v[22:23]
	v_fma_f64 v[10:11], v[204:205], s[20:21], -v[22:23]
	v_add_f64 v[16:17], v[24:25], v[16:17]
	v_mul_f64 v[24:25], v[46:47], s[22:23]
	v_add_f64 v[8:9], v[10:11], v[8:9]
	v_fma_f64 v[26:27], v[225:226], s[18:19], -v[24:25]
	v_fma_f64 v[10:11], v[225:226], s[18:19], v[24:25]
	v_add_f64 v[26:27], v[120:121], v[26:27]
	v_add_f64 v[10:11], v[120:121], v[10:11]
	;; [unrolled: 1-line block ×3, first 2 shown]
	v_mul_f64 v[30:31], v[249:250], s[42:43]
	v_add_f64 v[10:11], v[12:13], v[10:11]
	v_mov_b32_e32 v252, v67
	v_mov_b32_e32 v251, v66
	;; [unrolled: 1-line block ×5, first 2 shown]
	v_fma_f64 v[216:217], v[237:238], s[28:29], -v[30:31]
	v_fma_f64 v[12:13], v[237:238], s[28:29], v[30:31]
	v_add_f64 v[26:27], v[216:217], v[26:27]
	v_mul_f64 v[216:217], v[44:45], s[56:57]
	v_add_f64 v[10:11], v[12:13], v[10:11]
	v_fma_f64 v[218:219], v[245:246], s[38:39], -v[216:217]
	v_fma_f64 v[12:13], v[245:246], s[38:39], v[216:217]
	v_mul_f64 v[216:217], v[231:232], s[18:19]
	v_add_f64 v[26:27], v[218:219], v[26:27]
	v_mul_f64 v[218:219], v[48:49], s[16:17]
	v_add_f64 v[10:11], v[12:13], v[10:11]
	v_fma_f64 v[220:221], v[188:189], s[10:11], -v[218:219]
	v_fma_f64 v[12:13], v[188:189], s[10:11], v[218:219]
	v_mul_f64 v[218:219], v[188:189], s[2:3]
	v_add_f64 v[26:27], v[220:221], v[26:27]
	v_fma_f64 v[220:221], v[196:197], s[34:35], -v[229:230]
	v_add_f64 v[10:11], v[12:13], v[10:11]
	v_fma_f64 v[12:13], v[196:197], s[34:35], v[229:230]
	v_mul_f64 v[229:230], v[237:238], s[20:21]
	v_add_f64 v[26:27], v[220:221], v[26:27]
	v_fma_f64 v[220:221], v[202:203], s[20:21], -v[235:236]
	v_add_f64 v[10:11], v[12:13], v[10:11]
	v_fma_f64 v[12:13], v[202:203], s[20:21], v[235:236]
	v_mul_f64 v[235:236], v[196:197], s[38:39]
	v_add_f64 v[26:27], v[220:221], v[26:27]
	v_fma_f64 v[220:221], v[4:5], s[2:3], v[243:244]
	v_add_f64 v[12:13], v[12:13], v[10:11]
	v_mul_f64 v[10:11], v[241:242], s[16:17]
	v_mul_f64 v[243:244], v[245:246], s[26:27]
	v_add_f64 v[222:223], v[220:221], v[16:17]
	v_mul_f64 v[16:17], v[212:213], s[52:53]
	s_waitcnt vmcnt(0)
	v_add_f64 v[18:19], v[18:19], -v[10:11]
	v_add_f64 v[10:11], v[14:15], v[8:9]
	v_mul_f64 v[14:15], v[82:83], s[46:47]
	v_fma_f64 v[220:221], v[210:211], s[2:3], -v[16:17]
	v_fma_f64 v[16:17], v[210:211], s[2:3], v[16:17]
	v_add_f64 v[18:19], v[122:123], v[18:19]
	v_add_f64 v[220:221], v[220:221], v[26:27]
	;; [unrolled: 1-line block ×3, first 2 shown]
	buffer_load_dword v16, off, s[64:67], 0 offset:212 ; 4-byte Folded Reload
	buffer_load_dword v17, off, s[64:67], 0 offset:216 ; 4-byte Folded Reload
	;; [unrolled: 1-line block ×16, first 2 shown]
	v_mul_f64 v[12:13], v[225:226], s[10:11]
	s_waitcnt vmcnt(14)
	v_add_f64 v[16:17], v[16:17], -v[20:21]
	v_mul_f64 v[20:21], v[190:191], s[42:43]
	s_waitcnt vmcnt(10)
	v_add_f64 v[14:15], v[24:25], -v[14:15]
	v_mul_f64 v[24:25], v[200:201], s[52:53]
	v_add_f64 v[12:13], v[12:13], v[22:23]
	v_mul_f64 v[22:23], v[231:232], s[20:21]
	v_add_f64 v[16:17], v[16:17], v[18:19]
	s_waitcnt vmcnt(8)
	v_add_f64 v[20:21], v[26:27], -v[20:21]
	v_mul_f64 v[26:27], v[237:238], s[26:27]
	s_waitcnt vmcnt(4)
	v_add_f64 v[24:25], v[30:31], -v[24:25]
	v_mul_f64 v[30:31], v[245:246], s[28:29]
	v_add_f64 v[22:23], v[22:23], v[28:29]
	v_add_f64 v[12:13], v[120:121], v[12:13]
	v_mul_f64 v[28:29], v[241:242], s[8:9]
	v_add_f64 v[14:15], v[14:15], v[16:17]
	v_mul_f64 v[16:17], v[208:209], s[40:41]
	s_waitcnt vmcnt(2)
	v_add_f64 v[26:27], v[26:27], v[78:79]
	buffer_load_dword v78, off, s[64:67], 0 offset:260 ; 4-byte Folded Reload
	buffer_load_dword v79, off, s[64:67], 0 offset:264 ; 4-byte Folded Reload
	v_mul_f64 v[18:19], v[225:226], s[2:3]
	v_add_f64 v[12:13], v[22:23], v[12:13]
	v_mul_f64 v[22:23], v[50:51], s[22:23]
	v_add_f64 v[14:15], v[20:21], v[14:15]
	s_waitcnt vmcnt(2)
	v_add_f64 v[16:17], v[46:47], -v[16:17]
	buffer_load_dword v46, off, s[64:67], 0 offset:332 ; 4-byte Folded Reload
	buffer_load_dword v47, off, s[64:67], 0 offset:336 ; 4-byte Folded Reload
	v_mul_f64 v[20:21], v[6:7], s[22:23]
	v_mul_f64 v[50:51], v[50:51], s[8:9]
	v_add_f64 v[12:13], v[26:27], v[12:13]
	v_mul_f64 v[26:27], v[82:83], s[24:25]
	v_add_f64 v[14:15], v[24:25], v[14:15]
	;; [unrolled: 2-line block ×3, first 2 shown]
	v_mul_f64 v[16:17], v[202:203], s[18:19]
	s_waitcnt vmcnt(2)
	v_add_f64 v[30:31], v[30:31], v[78:79]
	buffer_load_dword v78, off, s[64:67], 0 offset:276 ; 4-byte Folded Reload
	buffer_load_dword v79, off, s[64:67], 0 offset:280 ; 4-byte Folded Reload
	s_waitcnt vmcnt(2)
	v_add_f64 v[20:21], v[46:47], -v[20:21]
	buffer_load_dword v46, off, s[64:67], 0 offset:348 ; 4-byte Folded Reload
	buffer_load_dword v47, off, s[64:67], 0 offset:352 ; 4-byte Folded Reload
	v_add_f64 v[12:13], v[30:31], v[12:13]
	v_mul_f64 v[30:31], v[190:191], s[30:31]
	v_add_f64 v[14:15], v[20:21], v[14:15]
	v_mul_f64 v[20:21], v[196:197], s[28:29]
	v_add_f64 v[30:31], v[80:81], -v[30:31]
	s_waitcnt vmcnt(2)
	v_add_f64 v[218:219], v[218:219], v[78:79]
	buffer_load_dword v78, off, s[64:67], 0 offset:300 ; 4-byte Folded Reload
	buffer_load_dword v79, off, s[64:67], 0 offset:304 ; 4-byte Folded Reload
	s_nop 0
	buffer_store_dword v70, off, s[64:67], 0 offset:212 ; 4-byte Folded Spill
	buffer_store_dword v71, off, s[64:67], 0 offset:228 ; 4-byte Folded Spill
	buffer_store_dword v72, off, s[64:67], 0 offset:236 ; 4-byte Folded Spill
	v_mov_b32_e32 v71, v45
	v_mov_b32_e32 v70, v44
	v_mul_f64 v[44:45], v[202:203], s[10:11]
	s_waitcnt vmcnt(5)
	v_add_f64 v[24:25], v[46:47], -v[24:25]
	buffer_load_dword v46, off, s[64:67], 0 offset:316 ; 4-byte Folded Reload
	buffer_load_dword v47, off, s[64:67], 0 offset:320 ; 4-byte Folded Reload
	v_add_f64 v[12:13], v[218:219], v[12:13]
	v_add_f64 v[218:219], v[24:25], v[14:15]
	s_waitcnt vmcnt(5)
	v_add_f64 v[235:236], v[235:236], v[78:79]
	v_mov_b32_e32 v79, v69
	v_mov_b32_e32 v78, v68
	;; [unrolled: 1-line block ×6, first 2 shown]
	s_waitcnt vmcnt(0)
	v_add_f64 v[16:17], v[16:17], v[46:47]
	buffer_load_dword v46, off, s[64:67], 0 offset:484 ; 4-byte Folded Reload
	buffer_load_dword v47, off, s[64:67], 0 offset:488 ; 4-byte Folded Reload
	;; [unrolled: 1-line block ×4, first 2 shown]
	v_mov_b32_e32 v62, v55
	v_mov_b32_e32 v61, v54
	;; [unrolled: 1-line block ×8, first 2 shown]
	v_mul_f64 v[34:35], v[210:211], s[34:35]
	v_add_f64 v[12:13], v[235:236], v[12:13]
	v_mul_f64 v[32:33], v[200:201], s[48:49]
	v_mov_b32_e32 v69, v63
	v_mov_b32_e32 v63, v57
	;; [unrolled: 1-line block ×5, first 2 shown]
	v_mul_f64 v[194:195], v[208:209], s[42:43]
	v_add_f64 v[12:13], v[16:17], v[12:13]
	v_mul_f64 v[235:236], v[6:7], s[54:55]
	s_waitcnt vmcnt(2)
	v_add_f64 v[28:29], v[46:47], -v[28:29]
	s_waitcnt vmcnt(0)
	v_add_f64 v[34:35], v[34:35], v[75:76]
	buffer_load_dword v75, off, s[64:67], 0 offset:564 ; 4-byte Folded Reload
	buffer_load_dword v76, off, s[64:67], 0 offset:568 ; 4-byte Folded Reload
	;; [unrolled: 1-line block ×6, first 2 shown]
	v_mul_f64 v[46:47], v[2:3], s[56:57]
	v_mul_f64 v[2:3], v[2:3], s[30:31]
	v_add_f64 v[28:29], v[122:123], v[28:29]
	s_waitcnt vmcnt(4)
	v_add_f64 v[22:23], v[75:76], -v[22:23]
	s_waitcnt vmcnt(2)
	v_add_f64 v[14:15], v[14:15], -v[46:47]
	s_waitcnt vmcnt(0)
	v_add_f64 v[16:17], v[18:19], v[16:17]
	buffer_load_dword v18, off, s[64:67], 0 offset:284 ; 4-byte Folded Reload
	buffer_load_dword v19, off, s[64:67], 0 offset:288 ; 4-byte Folded Reload
	;; [unrolled: 1-line block ×4, first 2 shown]
	v_mov_b32_e32 v77, v49
	v_mov_b32_e32 v76, v48
	v_mul_f64 v[48:49], v[210:211], s[38:39]
	v_add_f64 v[22:23], v[22:23], v[28:29]
	buffer_load_dword v28, off, s[64:67], 0 offset:252 ; 4-byte Folded Reload
	buffer_load_dword v29, off, s[64:67], 0 offset:256 ; 4-byte Folded Reload
	;; [unrolled: 1-line block ×4, first 2 shown]
	v_add_f64 v[16:17], v[120:121], v[16:17]
	s_waitcnt vmcnt(6)
	v_add_f64 v[18:19], v[18:19], -v[235:236]
	s_waitcnt vmcnt(4)
	v_add_f64 v[24:25], v[24:25], -v[26:27]
	v_mul_f64 v[26:27], v[241:242], s[40:41]
	s_waitcnt vmcnt(2)
	v_add_f64 v[28:29], v[28:29], -v[194:195]
	s_waitcnt vmcnt(0)
	v_add_f64 v[32:33], v[46:47], -v[32:33]
	buffer_load_dword v46, off, s[64:67], 0 offset:444 ; 4-byte Folded Reload
	buffer_load_dword v47, off, s[64:67], 0 offset:448 ; 4-byte Folded Reload
	v_add_f64 v[22:23], v[24:25], v[22:23]
	v_add_f64 v[24:25], v[229:230], v[73:74]
	v_fma_f64 v[194:195], v[227:228], s[38:39], v[26:27]
	v_fma_f64 v[26:27], v[227:228], s[38:39], -v[26:27]
	v_add_f64 v[22:23], v[30:31], v[22:23]
	buffer_load_dword v30, off, s[64:67], 0 offset:428 ; 4-byte Folded Reload
	buffer_load_dword v31, off, s[64:67], 0 offset:432 ; 4-byte Folded Reload
	v_add_f64 v[194:195], v[122:123], v[194:195]
	v_add_f64 v[26:27], v[122:123], v[26:27]
	v_add_f64 v[22:23], v[32:33], v[22:23]
	v_add_f64 v[32:33], v[253:254], v[78:79]
	v_add_f64 v[22:23], v[28:29], v[22:23]
	buffer_load_dword v28, off, s[64:67], 0 offset:420 ; 4-byte Folded Reload
	buffer_load_dword v29, off, s[64:67], 0 offset:424 ; 4-byte Folded Reload
	v_add_f64 v[18:19], v[18:19], v[22:23]
	buffer_load_dword v22, off, s[64:67], 0 offset:220 ; 4-byte Folded Reload
	buffer_load_dword v23, off, s[64:67], 0 offset:224 ; 4-byte Folded Reload
	s_waitcnt vmcnt(6)
	v_add_f64 v[46:47], v[216:217], v[46:47]
	v_fma_f64 v[216:217], v[233:234], s[2:3], v[50:51]
	v_fma_f64 v[50:51], v[233:234], s[2:3], -v[50:51]
	v_add_f64 v[16:17], v[46:47], v[16:17]
	v_mul_f64 v[46:47], v[82:83], s[16:17]
	s_waitcnt vmcnt(4)
	v_add_f64 v[30:31], v[243:244], v[30:31]
	v_add_f64 v[130:131], v[216:217], v[194:195]
	v_mov_b32_e32 v194, v255
	v_mov_b32_e32 v255, v224
	;; [unrolled: 1-line block ×4, first 2 shown]
	v_add_f64 v[16:17], v[24:25], v[16:17]
	v_fma_f64 v[128:129], v[239:240], s[10:11], v[46:47]
	v_mov_b32_e32 v63, v69
	v_mul_f64 v[24:25], v[190:191], s[22:23]
	v_fma_f64 v[46:47], v[239:240], s[10:11], -v[46:47]
	v_add_f64 v[26:27], v[50:51], v[26:27]
	v_add_f64 v[216:217], v[34:35], v[12:13]
	v_mul_lo_u16_e32 v12, 17, v255
	v_add_f64 v[16:17], v[30:31], v[16:17]
	v_add_f64 v[128:129], v[128:129], v[130:131]
	s_waitcnt vmcnt(2)
	v_add_f64 v[20:21], v[20:21], v[28:29]
	v_mul_f64 v[130:131], v[70:71], s[22:23]
	v_fma_f64 v[132:133], v[247:248], s[18:19], v[24:25]
	v_mul_f64 v[30:31], v[200:201], s[50:51]
	v_add_f64 v[28:29], v[126:127], v[138:139]
	v_fma_f64 v[24:25], v[247:248], s[18:19], -v[24:25]
	v_add_f64 v[16:17], v[32:33], v[16:17]
	v_mul_f64 v[32:33], v[208:209], s[24:25]
	s_waitcnt vmcnt(0)
	v_add_f64 v[22:23], v[44:45], v[22:23]
	v_add_f64 v[44:45], v[124:125], v[140:141]
	;; [unrolled: 1-line block ×3, first 2 shown]
	v_fma_f64 v[126:127], v[192:193], s[28:29], v[30:31]
	v_add_f64 v[28:29], v[28:29], v[142:143]
	v_add_f64 v[26:27], v[46:47], v[26:27]
	;; [unrolled: 1-line block ×3, first 2 shown]
	v_mul_f64 v[20:21], v[6:7], s[44:45]
	v_add_f64 v[6:7], v[14:15], v[18:19]
	buffer_load_dword v14, off, s[64:67], 0 offset:244 ; 4-byte Folded Reload
	buffer_load_dword v15, off, s[64:67], 0 offset:248 ; 4-byte Folded Reload
	buffer_load_dword v72, off, s[64:67], 0 offset:636 ; 4-byte Folded Reload
	buffer_load_dword v73, off, s[64:67], 0 offset:640 ; 4-byte Folded Reload
	buffer_load_dword v69, off, s[64:67], 0 offset:628 ; 4-byte Folded Reload
	buffer_load_dword v70, off, s[64:67], 0 offset:632 ; 4-byte Folded Reload
	v_fma_f64 v[124:125], v[198:199], s[20:21], v[32:33]
	v_add_f64 v[126:127], v[126:127], v[128:129]
	v_add_f64 v[18:19], v[28:29], v[146:147]
	;; [unrolled: 1-line block ×3, first 2 shown]
	v_mul_f64 v[128:129], v[76:77], s[50:51]
	v_fma_f64 v[46:47], v[245:246], s[18:19], v[130:131]
	v_fma_f64 v[30:31], v[192:193], s[28:29], -v[30:31]
	v_add_f64 v[24:25], v[24:25], v[26:27]
	v_fma_f64 v[32:33], v[198:199], s[20:21], -v[32:33]
	v_add_f64 v[44:45], v[124:125], v[126:127]
	v_mul_f64 v[126:127], v[206:207], s[24:25]
	v_add_f64 v[16:17], v[22:23], v[16:17]
	v_fma_f64 v[26:27], v[188:189], s[28:29], v[128:129]
	v_fma_f64 v[22:23], v[204:205], s[34:35], v[20:21]
	v_fma_f64 v[20:21], v[204:205], s[34:35], -v[20:21]
	v_add_f64 v[24:25], v[30:31], v[24:25]
	v_add_f64 v[28:29], v[28:29], v[152:153]
	;; [unrolled: 1-line block ×3, first 2 shown]
	v_fma_f64 v[30:31], v[196:197], s[20:21], v[126:127]
	v_mov_b32_e32 v195, v64
	v_lshlrev_b32_e32 v254, 4, v255
	v_add_f64 v[22:23], v[22:23], v[44:45]
	v_add_f64 v[24:25], v[32:33], v[24:25]
	v_fma_f64 v[32:33], v[202:203], s[34:35], v[0:1]
	v_add_f64 v[28:29], v[28:29], v[156:157]
	v_fma_f64 v[0:1], v[202:203], s[34:35], -v[0:1]
	v_add_f64 v[18:19], v[18:19], v[158:159]
	v_add_f64 v[20:21], v[20:21], v[24:25]
	;; [unrolled: 1-line block ×14, first 2 shown]
	s_waitcnt vmcnt(4)
	v_add_f64 v[14:15], v[48:49], v[14:15]
	s_waitcnt vmcnt(2)
	v_mul_f64 v[124:125], v[72:73], s[40:41]
	s_waitcnt vmcnt(0)
	v_mul_f64 v[132:133], v[69:70], s[8:9]
	buffer_load_dword v69, off, s[64:67], 0 offset:620 ; 4-byte Folded Reload
	buffer_load_dword v70, off, s[64:67], 0 offset:624 ; 4-byte Folded Reload
	v_mul_f64 v[48:49], v[212:213], s[30:31]
	v_add_f64 v[28:29], v[28:29], v[116:117]
	v_add_f64 v[18:19], v[18:19], v[118:119]
	v_fma_f64 v[134:135], v[225:226], s[38:39], v[124:125]
	v_fma_f64 v[124:125], v[225:226], s[38:39], -v[124:125]
	v_fma_f64 v[122:123], v[231:232], s[2:3], v[132:133]
	v_fma_f64 v[132:133], v[231:232], s[2:3], -v[132:133]
	;; [unrolled: 2-line block ×3, first 2 shown]
	v_add_f64 v[134:135], v[120:121], v[134:135]
	v_add_f64 v[120:121], v[120:121], v[124:125]
	;; [unrolled: 1-line block ×4, first 2 shown]
	s_waitcnt vmcnt(0)
	v_mul_f64 v[136:137], v[69:70], s[16:17]
	v_fma_f64 v[50:51], v[237:238], s[10:11], v[136:137]
	v_fma_f64 v[124:125], v[237:238], s[10:11], -v[136:137]
	v_add_f64 v[50:51], v[50:51], v[122:123]
	v_fma_f64 v[122:123], v[245:246], s[18:19], -v[130:131]
	v_add_f64 v[120:121], v[124:125], v[120:121]
	v_add_f64 v[46:47], v[46:47], v[50:51]
	v_fma_f64 v[50:51], v[188:189], s[28:29], -v[128:129]
	v_add_f64 v[120:121], v[122:123], v[120:121]
	;; [unrolled: 3-line block ×3, first 2 shown]
	v_add_f64 v[26:27], v[30:31], v[26:27]
	v_add_f64 v[30:31], v[46:47], v[50:51]
	v_fma_f64 v[46:47], v[4:5], s[26:27], -v[2:3]
	v_add_f64 v[26:27], v[32:33], v[26:27]
	v_fma_f64 v[32:33], v[4:5], s[26:27], v[2:3]
	v_add_f64 v[30:31], v[0:1], v[30:31]
	v_add_f64 v[2:3], v[46:47], v[20:21]
	buffer_load_dword v46, off, s[64:67], 0 ; 4-byte Folded Reload
	buffer_load_dword v47, off, s[64:67], 0 offset:4 ; 4-byte Folded Reload
	buffer_load_dword v48, off, s[64:67], 0 offset:8 ; 4-byte Folded Reload
	;; [unrolled: 1-line block ×6, first 2 shown]
	v_add_f64 v[4:5], v[14:15], v[16:17]
	v_add_f64 v[0:1], v[24:25], v[26:27]
	;; [unrolled: 1-line block ×4, first 2 shown]
	v_mov_b32_e32 v32, v52
	v_mov_b32_e32 v33, v53
	;; [unrolled: 1-line block ×16, first 2 shown]
	s_waitcnt vmcnt(5)
	v_add_f64 v[116:117], v[28:29], v[46:47]
	buffer_load_dword v28, off, s[64:67], 0 offset:372 ; 4-byte Folded Reload
	buffer_load_dword v29, off, s[64:67], 0 offset:376 ; 4-byte Folded Reload
	;; [unrolled: 1-line block ×5, first 2 shown]
	s_waitcnt vmcnt(8)
	v_add_f64 v[118:119], v[18:19], v[48:49]
	s_waitcnt vmcnt(0)
	v_lshl_add_u32 v12, v12, 4, v13
	ds_write_b128 v12, v[116:119]
	ds_write_b128 v12, v[0:3] offset:16
	ds_write_b128 v12, v[4:7] offset:32
	;; [unrolled: 1-line block ×3, first 2 shown]
	buffer_load_dword v216, off, s[64:67], 0 offset:356 ; 4-byte Folded Reload
	buffer_load_dword v217, off, s[64:67], 0 offset:360 ; 4-byte Folded Reload
	;; [unrolled: 1-line block ×4, first 2 shown]
	ds_write_b128 v12, v[8:11] offset:64
	buffer_load_dword v0, off, s[64:67], 0 offset:604 ; 4-byte Folded Reload
	buffer_load_dword v1, off, s[64:67], 0 offset:608 ; 4-byte Folded Reload
	buffer_load_dword v2, off, s[64:67], 0 offset:612 ; 4-byte Folded Reload
	buffer_load_dword v3, off, s[64:67], 0 offset:616 ; 4-byte Folded Reload
	s_waitcnt vmcnt(0)
	ds_write_b128 v12, v[0:3] offset:80
	buffer_load_dword v0, off, s[64:67], 0 offset:572 ; 4-byte Folded Reload
	buffer_load_dword v1, off, s[64:67], 0 offset:576 ; 4-byte Folded Reload
	buffer_load_dword v2, off, s[64:67], 0 offset:580 ; 4-byte Folded Reload
	buffer_load_dword v3, off, s[64:67], 0 offset:584 ; 4-byte Folded Reload
	s_waitcnt vmcnt(0)
	;; [unrolled: 6-line block ×8, first 2 shown]
	ds_write_b128 v12, v[0:3] offset:192
	ds_write_b128 v12, v[220:223] offset:208
	buffer_load_dword v220, off, s[64:67], 0 offset:388 ; 4-byte Folded Reload
	buffer_load_dword v221, off, s[64:67], 0 offset:392 ; 4-byte Folded Reload
	;; [unrolled: 1-line block ×4, first 2 shown]
	ds_write_b128 v12, v[184:187] offset:224
	ds_write_b128 v12, v[180:183] offset:240
	;; [unrolled: 1-line block ×3, first 2 shown]
.LBB0_17:
	s_or_b64 exec, exec, s[36:37]
	s_waitcnt vmcnt(0) lgkmcnt(0)
	s_barrier
	ds_read_b128 v[132:135], v214
	ds_read_b128 v[136:139], v214 offset:544
	ds_read_b128 v[160:163], v214 offset:4624
	ds_read_b128 v[144:147], v214 offset:5168
	ds_read_b128 v[128:131], v214 offset:1088
	ds_read_b128 v[116:119], v214 offset:1632
	ds_read_b128 v[148:151], v214 offset:5712
	ds_read_b128 v[152:155], v214 offset:6256
	ds_read_b128 v[124:127], v214 offset:2176
	ds_read_b128 v[120:123], v214 offset:2720
	ds_read_b128 v[164:167], v214 offset:4080
	ds_read_b128 v[0:3], v214 offset:3264
	ds_read_b128 v[156:159], v214 offset:6800
	ds_read_b128 v[140:143], v214 offset:7344
	s_and_saveexec_b64 s[2:3], s[0:1]
	s_cbranch_execz .LBB0_19
; %bb.18:
	ds_read_b128 v[184:187], v214 offset:3808
	ds_read_b128 v[180:183], v214 offset:7888
.LBB0_19:
	s_or_b64 exec, exec, s[2:3]
	s_waitcnt lgkmcnt(3)
	v_mul_f64 v[6:7], v[34:35], v[166:167]
	v_mul_f64 v[8:9], v[34:35], v[164:165]
	;; [unrolled: 1-line block ×4, first 2 shown]
	v_add_u32_e32 v5, 0x220, v215
	v_add_u32_e32 v4, 0x440, v215
	v_fma_f64 v[6:7], v[32:33], v[164:165], v[6:7]
	v_fma_f64 v[8:9], v[32:33], v[166:167], -v[8:9]
	buffer_load_dword v30, off, s[64:67], 0 offset:60 ; 4-byte Folded Reload
	buffer_load_dword v31, off, s[64:67], 0 offset:64 ; 4-byte Folded Reload
	;; [unrolled: 1-line block ×4, first 2 shown]
	v_fma_f64 v[10:11], v[28:29], v[160:161], v[10:11]
	v_fma_f64 v[12:13], v[28:29], v[162:163], -v[12:13]
	v_add_f64 v[6:7], v[132:133], -v[6:7]
	v_add_f64 v[8:9], v[134:135], -v[8:9]
	;; [unrolled: 1-line block ×4, first 2 shown]
	s_waitcnt vmcnt(0)
	v_mul_f64 v[14:15], v[32:33], v[146:147]
	v_mul_f64 v[16:17], v[32:33], v[144:145]
	buffer_load_dword v32, off, s[64:67], 0 offset:76 ; 4-byte Folded Reload
	buffer_load_dword v33, off, s[64:67], 0 offset:80 ; 4-byte Folded Reload
	;; [unrolled: 1-line block ×12, first 2 shown]
	s_waitcnt vmcnt(0) lgkmcnt(0)
	s_barrier
	v_fma_f64 v[14:15], v[30:31], v[144:145], v[14:15]
	v_fma_f64 v[16:17], v[30:31], v[146:147], -v[16:17]
	v_mul_f64 v[18:19], v[34:35], v[150:151]
	v_mul_f64 v[22:23], v[46:47], v[154:155]
	;; [unrolled: 1-line block ×6, first 2 shown]
	v_fma_f64 v[30:31], v[32:33], v[148:149], v[18:19]
	v_fma_f64 v[34:35], v[44:45], v[152:153], v[22:23]
	v_fma_f64 v[44:45], v[44:45], v[154:155], -v[24:25]
	v_mul_f64 v[22:23], v[222:223], v[142:143]
	v_mul_f64 v[24:25], v[222:223], v[140:141]
	v_fma_f64 v[32:33], v[32:33], v[150:151], -v[20:21]
	v_add_f64 v[18:19], v[128:129], -v[14:15]
	v_add_f64 v[20:21], v[130:131], -v[16:17]
	v_fma_f64 v[14:15], v[132:133], 2.0, -v[6:7]
	v_fma_f64 v[16:17], v[134:135], 2.0, -v[8:9]
	v_fma_f64 v[46:47], v[48:49], v[156:157], v[26:27]
	v_fma_f64 v[50:51], v[220:221], v[140:141], v[22:23]
	v_fma_f64 v[140:141], v[220:221], v[142:143], -v[24:25]
	v_fma_f64 v[22:23], v[136:137], 2.0, -v[10:11]
	v_fma_f64 v[24:25], v[138:139], 2.0, -v[12:13]
	ds_write_b128 v195, v[14:17]
	ds_write_b128 v195, v[6:9] offset:272
	ds_write_b128 v224, v[22:25]
	ds_write_b128 v224, v[10:13] offset:272
	buffer_load_dword v6, off, s[64:67], 0 offset:92 ; 4-byte Folded Reload
	v_fma_f64 v[48:49], v[48:49], v[158:159], -v[28:29]
	v_add_f64 v[30:31], v[116:117], -v[30:31]
	v_add_f64 v[32:33], v[118:119], -v[32:33]
	v_fma_f64 v[26:27], v[128:129], 2.0, -v[18:19]
	v_fma_f64 v[28:29], v[130:131], 2.0, -v[20:21]
	v_add_f64 v[128:129], v[124:125], -v[34:35]
	v_add_f64 v[130:131], v[126:127], -v[44:45]
	;; [unrolled: 1-line block ×6, first 2 shown]
	v_fma_f64 v[116:117], v[116:117], 2.0, -v[30:31]
	v_fma_f64 v[118:119], v[118:119], 2.0, -v[32:33]
	;; [unrolled: 1-line block ×8, first 2 shown]
	s_waitcnt vmcnt(0)
	ds_write_b128 v6, v[26:29]
	ds_write_b128 v6, v[18:21] offset:272
	ds_write_b128 v58, v[116:119]
	ds_write_b128 v58, v[30:33] offset:272
	;; [unrolled: 2-line block ×5, first 2 shown]
	s_and_saveexec_b64 s[2:3], s[0:1]
	s_cbranch_execz .LBB0_21
; %bb.20:
	buffer_load_dword v10, off, s[64:67], 0 offset:16 ; 4-byte Folded Reload
	v_mul_f64 v[0:1], v[218:219], v[180:181]
	v_mul_f64 v[2:3], v[218:219], v[182:183]
	v_fma_f64 v[0:1], v[216:217], v[182:183], -v[0:1]
	v_fma_f64 v[6:7], v[216:217], v[180:181], v[2:3]
	v_add_f64 v[2:3], v[186:187], -v[0:1]
	v_add_f64 v[0:1], v[184:185], -v[6:7]
	v_fma_f64 v[8:9], v[186:187], 2.0, -v[2:3]
	v_fma_f64 v[6:7], v[184:185], 2.0, -v[0:1]
	s_waitcnt vmcnt(0)
	v_lshl_add_u32 v10, v194, 4, v10
	ds_write_b128 v10, v[6:9] offset:7616
	ds_write_b128 v10, v[0:3] offset:7888
.LBB0_21:
	s_or_b64 exec, exec, s[2:3]
	s_waitcnt lgkmcnt(0)
	s_barrier
	ds_read_b128 v[0:3], v214 offset:2720
	ds_read_b128 v[6:9], v214
	ds_read_b128 v[10:13], v214 offset:544
	ds_read_b128 v[14:17], v214 offset:5440
	;; [unrolled: 1-line block ×10, first 2 shown]
	s_waitcnt lgkmcnt(11)
	v_mul_f64 v[34:35], v[42:43], v[2:3]
	v_mul_f64 v[44:45], v[42:43], v[0:1]
	s_waitcnt lgkmcnt(8)
	v_mul_f64 v[48:49], v[38:39], v[14:15]
	s_waitcnt lgkmcnt(6)
	v_mul_f64 v[50:51], v[42:43], v[24:25]
	v_mul_f64 v[42:43], v[42:43], v[22:23]
	ds_read_b128 v[132:135], v214 offset:4352
	ds_read_b128 v[136:139], v214 offset:4896
	v_mul_f64 v[46:47], v[38:39], v[16:17]
	ds_read_b128 v[140:143], v214 offset:7616
	v_fma_f64 v[34:35], v[40:41], v[0:1], v[34:35]
	v_mul_f64 v[0:1], v[38:39], v[20:21]
	v_fma_f64 v[2:3], v[40:41], v[2:3], -v[44:45]
	v_fma_f64 v[16:17], v[36:37], v[16:17], -v[48:49]
	v_fma_f64 v[22:23], v[40:41], v[22:23], v[50:51]
	v_mul_f64 v[38:39], v[38:39], v[18:19]
	v_fma_f64 v[24:25], v[40:41], v[24:25], -v[42:43]
	s_waitcnt lgkmcnt(8)
	v_mul_f64 v[40:41], v[61:62], v[28:29]
	v_mul_f64 v[42:43], v[61:62], v[26:27]
	v_fma_f64 v[18:19], v[36:37], v[18:19], v[0:1]
	s_waitcnt lgkmcnt(5)
	v_mul_f64 v[0:1], v[54:55], v[122:123]
	buffer_load_dword v48, off, s[64:67], 0 offset:100 ; 4-byte Folded Reload
	buffer_load_dword v49, off, s[64:67], 0 offset:104 ; 4-byte Folded Reload
	;; [unrolled: 1-line block ×4, first 2 shown]
	v_fma_f64 v[14:15], v[36:37], v[14:15], v[46:47]
	v_fma_f64 v[20:21], v[36:37], v[20:21], -v[38:39]
	s_waitcnt lgkmcnt(4)
	v_mul_f64 v[38:39], v[66:67], v[126:127]
	v_fma_f64 v[26:27], v[59:60], v[26:27], v[40:41]
	v_fma_f64 v[28:29], v[59:60], v[28:29], -v[42:43]
	v_mul_f64 v[44:45], v[54:55], v[120:121]
	v_fma_f64 v[40:41], v[52:53], v[120:121], v[0:1]
	v_mul_f64 v[0:1], v[66:67], v[124:125]
	buffer_load_dword v66, off, s[64:67], 0 offset:132 ; 4-byte Folded Reload
	buffer_load_dword v67, off, s[64:67], 0 offset:136 ; 4-byte Folded Reload
	;; [unrolled: 1-line block ×8, first 2 shown]
	s_mov_b32 s0, 0xe8584caa
	s_mov_b32 s1, 0xbfebb67a
	s_mov_b32 s3, 0x3febb67a
	v_fma_f64 v[42:43], v[52:53], v[122:123], -v[44:45]
	s_mov_b32 s2, s0
	v_fma_f64 v[52:53], v[64:65], v[126:127], -v[0:1]
	v_add_f64 v[0:1], v[6:7], v[34:35]
	s_waitcnt vmcnt(0) lgkmcnt(0)
	s_barrier
	s_mov_b32 s9, 0x3fee6f0e
	s_mov_b32 s11, 0x3fe2cf23
	;; [unrolled: 1-line block ×4, first 2 shown]
	v_add_f64 v[0:1], v[0:1], v[14:15]
	v_mul_f64 v[46:47], v[50:51], v[134:135]
	v_mul_f64 v[36:37], v[50:51], v[132:133]
	v_fma_f64 v[50:51], v[64:65], v[124:125], v[38:39]
	v_add_f64 v[64:65], v[24:25], -v[20:21]
	v_fma_f64 v[44:45], v[48:49], v[132:133], v[46:47]
	v_fma_f64 v[48:49], v[48:49], v[134:135], -v[36:37]
	v_mul_f64 v[36:37], v[68:69], v[138:139]
	v_add_f64 v[46:47], v[34:35], v[14:15]
	v_mul_f64 v[38:39], v[68:69], v[136:137]
	v_mul_f64 v[54:55], v[62:63], v[142:143]
	;; [unrolled: 1-line block ×3, first 2 shown]
	v_add_f64 v[34:35], v[34:35], -v[14:15]
	v_fma_f64 v[58:59], v[66:67], v[136:137], v[36:37]
	v_fma_f64 v[36:37], v[46:47], -0.5, v[6:7]
	v_add_f64 v[46:47], v[2:3], -v[16:17]
	v_fma_f64 v[62:63], v[66:67], v[138:139], -v[38:39]
	v_fma_f64 v[54:55], v[60:61], v[140:141], v[54:55]
	v_fma_f64 v[56:57], v[60:61], v[142:143], -v[56:57]
	v_add_f64 v[38:39], v[2:3], v[16:17]
	v_add_f64 v[60:61], v[22:23], v[18:19]
	v_add_f64 v[2:3], v[8:9], v[2:3]
	v_add_f64 v[66:67], v[44:45], v[50:51]
	v_fma_f64 v[6:7], v[46:47], s[0:1], v[36:37]
	v_fma_f64 v[14:15], v[46:47], s[2:3], v[36:37]
	v_add_f64 v[36:37], v[10:11], v[22:23]
	v_add_f64 v[46:47], v[24:25], v[20:21]
	v_fma_f64 v[38:39], v[38:39], -0.5, v[8:9]
	v_fma_f64 v[60:61], v[60:61], -0.5, v[10:11]
	v_add_f64 v[2:3], v[2:3], v[16:17]
	v_add_f64 v[24:25], v[12:13], v[24:25]
	v_add_f64 v[120:121], v[58:59], -v[54:55]
	v_add_f64 v[10:11], v[36:37], v[18:19]
	v_fma_f64 v[36:37], v[46:47], -0.5, v[12:13]
	v_fma_f64 v[8:9], v[34:35], s[2:3], v[38:39]
	v_fma_f64 v[16:17], v[34:35], s[0:1], v[38:39]
	v_add_f64 v[34:35], v[26:27], v[40:41]
	v_add_f64 v[38:39], v[22:23], -v[18:19]
	v_fma_f64 v[18:19], v[64:65], s[0:1], v[60:61]
	v_fma_f64 v[22:23], v[64:65], s[2:3], v[60:61]
	v_add_f64 v[46:47], v[28:29], v[42:43]
	v_add_f64 v[60:61], v[30:31], v[26:27]
	;; [unrolled: 1-line block ×3, first 2 shown]
	v_add_f64 v[64:65], v[28:29], -v[42:43]
	v_fma_f64 v[34:35], v[34:35], -0.5, v[30:31]
	v_fma_f64 v[20:21], v[38:39], s[2:3], v[36:37]
	v_fma_f64 v[24:25], v[38:39], s[0:1], v[36:37]
	v_add_f64 v[28:29], v[32:33], v[28:29]
	v_fma_f64 v[36:37], v[46:47], -0.5, v[32:33]
	v_add_f64 v[38:39], v[26:27], -v[40:41]
	v_add_f64 v[26:27], v[60:61], v[40:41]
	v_add_f64 v[40:41], v[116:117], v[44:45]
	v_fma_f64 v[46:47], v[66:67], -0.5, v[116:117]
	v_add_f64 v[60:61], v[48:49], -v[52:53]
	v_fma_f64 v[30:31], v[64:65], s[0:1], v[34:35]
	v_fma_f64 v[34:35], v[64:65], s[2:3], v[34:35]
	v_add_f64 v[28:29], v[28:29], v[42:43]
	v_fma_f64 v[32:33], v[38:39], s[2:3], v[36:37]
	v_add_f64 v[64:65], v[48:49], v[52:53]
	;; [unrolled: 2-line block ×3, first 2 shown]
	v_add_f64 v[40:41], v[58:59], v[54:55]
	v_fma_f64 v[42:43], v[60:61], s[0:1], v[46:47]
	v_fma_f64 v[46:47], v[60:61], s[2:3], v[46:47]
	v_add_f64 v[60:61], v[62:63], v[56:57]
	v_add_f64 v[48:49], v[118:119], v[48:49]
	v_fma_f64 v[64:65], v[64:65], -0.5, v[118:119]
	v_add_f64 v[50:51], v[44:45], -v[50:51]
	v_add_f64 v[66:67], v[128:129], v[58:59]
	v_fma_f64 v[116:117], v[40:41], -0.5, v[128:129]
	v_add_f64 v[118:119], v[62:63], -v[56:57]
	v_add_f64 v[62:63], v[130:131], v[62:63]
	v_fma_f64 v[60:61], v[60:61], -0.5, v[130:131]
	v_add_f64 v[40:41], v[48:49], v[52:53]
	v_fma_f64 v[44:45], v[50:51], s[2:3], v[64:65]
	v_fma_f64 v[48:49], v[50:51], s[0:1], v[64:65]
	v_add_f64 v[50:51], v[66:67], v[54:55]
	v_fma_f64 v[54:55], v[118:119], s[0:1], v[116:117]
	v_fma_f64 v[58:59], v[118:119], s[2:3], v[116:117]
	;; [unrolled: 3-line block ×3, first 2 shown]
	ds_write_b128 v214, v[0:3]
	ds_write_b128 v214, v[6:9] offset:544
	ds_write_b128 v214, v[14:17] offset:1088
	;; [unrolled: 1-line block ×14, first 2 shown]
	s_waitcnt lgkmcnt(0)
	s_barrier
	ds_read_b128 v[0:3], v214
	ds_read_b128 v[6:9], v214 offset:544
	ds_read_b128 v[10:13], v214 offset:3264
	;; [unrolled: 1-line block ×11, first 2 shown]
	buffer_load_dword v80, off, s[64:67], 0 offset:196 ; 4-byte Folded Reload
	buffer_load_dword v81, off, s[64:67], 0 offset:200 ; 4-byte Folded Reload
	;; [unrolled: 1-line block ×4, first 2 shown]
	ds_read_b128 v[50:53], v214 offset:5440
	ds_read_b128 v[54:57], v214 offset:5984
	;; [unrolled: 1-line block ×3, first 2 shown]
	buffer_load_dword v76, off, s[64:67], 0 offset:180 ; 4-byte Folded Reload
	buffer_load_dword v77, off, s[64:67], 0 offset:184 ; 4-byte Folded Reload
	;; [unrolled: 1-line block ×12, first 2 shown]
	s_mov_b32 s0, 0x134454ff
	s_mov_b32 s1, 0xbfee6f0e
	;; [unrolled: 1-line block ×6, first 2 shown]
	s_waitcnt vmcnt(12) lgkmcnt(8)
	v_mul_f64 v[62:63], v[82:83], v[28:29]
	v_mul_f64 v[64:65], v[82:83], v[26:27]
	s_waitcnt vmcnt(8)
	v_mul_f64 v[66:67], v[78:79], v[12:13]
	v_mul_f64 v[78:79], v[78:79], v[10:11]
	s_waitcnt vmcnt(4) lgkmcnt(4)
	v_mul_f64 v[82:83], v[74:75], v[44:45]
	v_mul_f64 v[74:75], v[74:75], v[42:43]
	v_fma_f64 v[26:27], v[80:81], v[26:27], v[62:63]
	s_waitcnt vmcnt(0)
	v_mul_f64 v[62:63], v[70:71], v[20:21]
	v_mul_f64 v[70:71], v[70:71], v[18:19]
	v_fma_f64 v[28:29], v[80:81], v[28:29], -v[64:65]
	v_fma_f64 v[64:65], v[76:77], v[10:11], v[66:67]
	v_mul_f64 v[10:11], v[102:103], v[36:37]
	v_fma_f64 v[66:67], v[76:77], v[12:13], -v[78:79]
	v_fma_f64 v[12:13], v[72:73], v[42:43], v[82:83]
	v_fma_f64 v[42:43], v[72:73], v[44:45], -v[74:75]
	v_fma_f64 v[18:19], v[68:69], v[18:19], v[62:63]
	v_fma_f64 v[20:21], v[68:69], v[20:21], -v[70:71]
	v_mul_f64 v[44:45], v[102:103], v[34:35]
	v_mul_f64 v[62:63], v[98:99], v[16:17]
	;; [unrolled: 1-line block ×3, first 2 shown]
	s_waitcnt lgkmcnt(2)
	v_mul_f64 v[72:73], v[94:95], v[50:51]
	v_fma_f64 v[34:35], v[100:101], v[34:35], v[10:11]
	v_mul_f64 v[10:11], v[90:91], v[24:25]
	v_mul_f64 v[70:71], v[94:95], v[52:53]
	v_mul_f64 v[74:75], v[90:91], v[22:23]
	v_fma_f64 v[36:37], v[100:101], v[36:37], -v[44:45]
	v_fma_f64 v[44:45], v[96:97], v[14:15], v[62:63]
	v_fma_f64 v[62:63], v[96:97], v[16:17], -v[68:69]
	v_fma_f64 v[52:53], v[92:93], v[52:53], -v[72:73]
	v_mul_f64 v[14:15], v[114:115], v[40:41]
	v_fma_f64 v[68:69], v[88:89], v[22:23], v[10:11]
	v_mul_f64 v[10:11], v[114:115], v[38:39]
	v_mul_f64 v[16:17], v[110:111], v[48:49]
	v_add_f64 v[22:23], v[0:1], v[26:27]
	v_add_f64 v[72:73], v[64:65], v[12:13]
	v_fma_f64 v[50:51], v[92:93], v[50:51], v[70:71]
	v_fma_f64 v[70:71], v[88:89], v[24:25], -v[74:75]
	v_fma_f64 v[74:75], v[112:113], v[38:39], v[14:15]
	s_waitcnt lgkmcnt(1)
	v_mul_f64 v[14:15], v[106:107], v[56:57]
	v_mul_f64 v[38:39], v[106:107], v[54:55]
	v_fma_f64 v[76:77], v[112:113], v[40:41], -v[10:11]
	v_fma_f64 v[78:79], v[108:109], v[46:47], v[16:17]
	v_add_f64 v[10:11], v[22:23], v[64:65]
	v_fma_f64 v[16:17], v[72:73], -0.5, v[0:1]
	v_add_f64 v[22:23], v[28:29], -v[20:21]
	v_mul_f64 v[24:25], v[110:111], v[46:47]
	v_fma_f64 v[54:55], v[104:105], v[54:55], v[14:15]
	v_fma_f64 v[56:57], v[104:105], v[56:57], -v[38:39]
	s_waitcnt lgkmcnt(0)
	v_mul_f64 v[14:15], v[86:87], v[60:61]
	v_add_f64 v[40:41], v[66:67], -v[42:43]
	v_add_f64 v[46:47], v[26:27], v[18:19]
	v_add_f64 v[72:73], v[26:27], -v[64:65]
	v_fma_f64 v[38:39], v[22:23], s[0:1], v[16:17]
	v_fma_f64 v[48:49], v[108:109], v[48:49], -v[24:25]
	v_mul_f64 v[24:25], v[86:87], v[58:59]
	v_add_f64 v[80:81], v[18:19], -v[12:13]
	v_fma_f64 v[58:59], v[84:85], v[58:59], v[14:15]
	v_add_f64 v[10:11], v[10:11], v[12:13]
	v_fma_f64 v[0:1], v[46:47], -0.5, v[0:1]
	v_add_f64 v[46:47], v[66:67], v[42:43]
	v_fma_f64 v[14:15], v[40:41], s[2:3], v[38:39]
	v_add_f64 v[38:39], v[2:3], v[28:29]
	v_fma_f64 v[60:61], v[84:85], v[60:61], -v[24:25]
	v_add_f64 v[24:25], v[72:73], v[80:81]
	v_fma_f64 v[16:17], v[22:23], s[8:9], v[16:17]
	v_add_f64 v[80:81], v[64:65], -v[26:27]
	v_fma_f64 v[72:73], v[40:41], s[8:9], v[0:1]
	v_add_f64 v[82:83], v[12:13], -v[18:19]
	v_fma_f64 v[0:1], v[40:41], s[0:1], v[0:1]
	v_add_f64 v[38:39], v[38:39], v[66:67]
	v_add_f64 v[10:11], v[10:11], v[18:19]
	v_fma_f64 v[46:47], v[46:47], -0.5, v[2:3]
	v_add_f64 v[26:27], v[26:27], -v[18:19]
	v_fma_f64 v[16:17], v[40:41], s[10:11], v[16:17]
	v_fma_f64 v[18:19], v[22:23], s[2:3], v[72:73]
	v_add_f64 v[40:41], v[80:81], v[82:83]
	v_fma_f64 v[22:23], v[22:23], s[10:11], v[0:1]
	v_add_f64 v[38:39], v[38:39], v[42:43]
	v_add_f64 v[80:81], v[28:29], v[20:21]
	v_add_f64 v[64:65], v[64:65], -v[12:13]
	v_fma_f64 v[72:73], v[26:27], s[8:9], v[46:47]
	v_fma_f64 v[0:1], v[24:25], s[16:17], v[14:15]
	v_fma_f64 v[14:15], v[24:25], s[16:17], v[16:17]
	v_fma_f64 v[18:19], v[40:41], s[16:17], v[18:19]
	v_fma_f64 v[22:23], v[40:41], s[16:17], v[22:23]
	v_add_f64 v[12:13], v[38:39], v[20:21]
	v_fma_f64 v[2:3], v[80:81], -0.5, v[2:3]
	v_add_f64 v[24:25], v[28:29], -v[66:67]
	v_add_f64 v[38:39], v[20:21], -v[42:43]
	v_add_f64 v[40:41], v[6:7], v[34:35]
	v_fma_f64 v[16:17], v[64:65], s[10:11], v[72:73]
	v_fma_f64 v[46:47], v[26:27], s[0:1], v[46:47]
	v_add_f64 v[72:73], v[44:45], v[50:51]
	v_add_f64 v[28:29], v[66:67], -v[28:29]
	v_fma_f64 v[80:81], v[64:65], s[0:1], v[2:3]
	v_add_f64 v[20:21], v[42:43], -v[20:21]
	v_fma_f64 v[2:3], v[64:65], s[8:9], v[2:3]
	v_add_f64 v[24:25], v[24:25], v[38:39]
	v_add_f64 v[38:39], v[40:41], v[44:45]
	v_fma_f64 v[40:41], v[64:65], s[2:3], v[46:47]
	v_fma_f64 v[42:43], v[72:73], -0.5, v[6:7]
	v_add_f64 v[46:47], v[36:37], -v[70:71]
	v_fma_f64 v[64:65], v[26:27], s[10:11], v[80:81]
	v_add_f64 v[28:29], v[28:29], v[20:21]
	v_fma_f64 v[26:27], v[26:27], s[2:3], v[2:3]
	v_add_f64 v[66:67], v[34:35], v[68:69]
	v_add_f64 v[38:39], v[38:39], v[50:51]
	v_fma_f64 v[2:3], v[24:25], s[16:17], v[16:17]
	v_fma_f64 v[16:17], v[24:25], s[16:17], v[40:41]
	;; [unrolled: 1-line block ×3, first 2 shown]
	v_add_f64 v[72:73], v[62:63], -v[52:53]
	v_fma_f64 v[20:21], v[28:29], s[16:17], v[64:65]
	v_fma_f64 v[24:25], v[28:29], s[16:17], v[26:27]
	v_fma_f64 v[26:27], v[66:67], -0.5, v[6:7]
	v_add_f64 v[6:7], v[38:39], v[68:69]
	v_add_f64 v[28:29], v[34:35], -v[44:45]
	v_add_f64 v[38:39], v[68:69], -v[50:51]
	v_fma_f64 v[42:43], v[46:47], s[8:9], v[42:43]
	v_fma_f64 v[40:41], v[72:73], s[2:3], v[40:41]
	v_add_f64 v[82:83], v[44:45], -v[34:35]
	v_add_f64 v[84:85], v[50:51], -v[68:69]
	v_fma_f64 v[80:81], v[72:73], s[8:9], v[26:27]
	v_add_f64 v[64:65], v[8:9], v[36:37]
	v_add_f64 v[66:67], v[62:63], v[52:53]
	v_add_f64 v[28:29], v[28:29], v[38:39]
	v_fma_f64 v[38:39], v[72:73], s[10:11], v[42:43]
	v_fma_f64 v[42:43], v[72:73], s[0:1], v[26:27]
	v_add_f64 v[68:69], v[34:35], -v[68:69]
	v_add_f64 v[44:45], v[44:45], -v[50:51]
	v_fma_f64 v[72:73], v[46:47], s[2:3], v[80:81]
	v_add_f64 v[80:81], v[82:83], v[84:85]
	v_add_f64 v[64:65], v[64:65], v[62:63]
	v_fma_f64 v[26:27], v[28:29], s[16:17], v[40:41]
	v_fma_f64 v[34:35], v[28:29], s[16:17], v[38:39]
	;; [unrolled: 1-line block ×3, first 2 shown]
	v_add_f64 v[46:47], v[36:37], v[70:71]
	v_fma_f64 v[66:67], v[66:67], -0.5, v[8:9]
	v_add_f64 v[50:51], v[78:79], v[54:55]
	v_fma_f64 v[38:39], v[80:81], s[16:17], v[72:73]
	v_add_f64 v[40:41], v[64:65], v[52:53]
	v_add_f64 v[72:73], v[36:37], -v[62:63]
	v_add_f64 v[82:83], v[70:71], -v[52:53]
	v_fma_f64 v[42:43], v[80:81], s[16:17], v[28:29]
	v_fma_f64 v[28:29], v[46:47], -0.5, v[8:9]
	v_fma_f64 v[64:65], v[68:69], s[8:9], v[66:67]
	v_add_f64 v[46:47], v[30:31], v[74:75]
	v_fma_f64 v[66:67], v[68:69], s[0:1], v[66:67]
	v_add_f64 v[36:37], v[62:63], -v[36:37]
	v_add_f64 v[52:53], v[52:53], -v[70:71]
	v_add_f64 v[8:9], v[40:41], v[70:71]
	v_fma_f64 v[50:51], v[50:51], -0.5, v[30:31]
	v_fma_f64 v[80:81], v[44:45], s[0:1], v[28:29]
	v_fma_f64 v[28:29], v[44:45], s[8:9], v[28:29]
	;; [unrolled: 1-line block ×3, first 2 shown]
	v_add_f64 v[64:65], v[76:77], -v[60:61]
	v_add_f64 v[72:73], v[72:73], v[82:83]
	v_add_f64 v[46:47], v[46:47], v[78:79]
	v_fma_f64 v[44:45], v[44:45], s[2:3], v[66:67]
	v_add_f64 v[52:53], v[36:37], v[52:53]
	v_fma_f64 v[80:81], v[68:69], s[10:11], v[80:81]
	v_fma_f64 v[68:69], v[68:69], s[2:3], v[28:29]
	v_add_f64 v[70:71], v[48:49], -v[56:57]
	v_fma_f64 v[62:63], v[64:65], s[0:1], v[50:51]
	v_add_f64 v[82:83], v[74:75], -v[78:79]
	v_add_f64 v[84:85], v[58:59], -v[54:55]
	v_add_f64 v[66:67], v[74:75], v[58:59]
	v_add_f64 v[46:47], v[46:47], v[54:55]
	v_fma_f64 v[28:29], v[72:73], s[16:17], v[40:41]
	v_fma_f64 v[36:37], v[72:73], s[16:17], v[44:45]
	;; [unrolled: 1-line block ×4, first 2 shown]
	v_add_f64 v[52:53], v[48:49], v[56:57]
	v_add_f64 v[72:73], v[76:77], v[60:61]
	v_fma_f64 v[62:63], v[70:71], s[2:3], v[62:63]
	v_add_f64 v[82:83], v[82:83], v[84:85]
	v_fma_f64 v[66:67], v[66:67], -0.5, v[30:31]
	v_add_f64 v[30:31], v[46:47], v[58:59]
	v_fma_f64 v[50:51], v[64:65], s[8:9], v[50:51]
	v_add_f64 v[68:69], v[78:79], -v[74:75]
	v_add_f64 v[80:81], v[54:55], -v[58:59]
	v_add_f64 v[84:85], v[32:33], v[76:77]
	v_fma_f64 v[52:53], v[52:53], -0.5, v[32:33]
	v_add_f64 v[58:59], v[74:75], -v[58:59]
	v_add_f64 v[54:55], v[78:79], -v[54:55]
	v_fma_f64 v[32:33], v[72:73], -0.5, v[32:33]
	v_fma_f64 v[46:47], v[82:83], s[16:17], v[62:63]
	v_fma_f64 v[62:63], v[70:71], s[8:9], v[66:67]
	;; [unrolled: 1-line block ×3, first 2 shown]
	v_add_f64 v[68:69], v[68:69], v[80:81]
	v_fma_f64 v[66:67], v[70:71], s[0:1], v[66:67]
	v_add_f64 v[70:71], v[84:85], v[48:49]
	v_fma_f64 v[72:73], v[58:59], s[8:9], v[52:53]
	v_add_f64 v[74:75], v[76:77], -v[48:49]
	v_add_f64 v[78:79], v[60:61], -v[56:57]
	v_fma_f64 v[52:53], v[58:59], s[0:1], v[52:53]
	v_fma_f64 v[80:81], v[54:55], s[0:1], v[32:33]
	v_add_f64 v[48:49], v[48:49], -v[76:77]
	v_add_f64 v[76:77], v[56:57], -v[60:61]
	v_fma_f64 v[32:33], v[54:55], s[8:9], v[32:33]
	v_fma_f64 v[62:63], v[64:65], s[2:3], v[62:63]
	;; [unrolled: 1-line block ×3, first 2 shown]
	v_add_f64 v[56:57], v[70:71], v[56:57]
	v_fma_f64 v[66:67], v[54:55], s[10:11], v[72:73]
	v_add_f64 v[70:71], v[74:75], v[78:79]
	v_fma_f64 v[52:53], v[54:55], s[2:3], v[52:53]
	v_fma_f64 v[72:73], v[58:59], s[10:11], v[80:81]
	v_add_f64 v[74:75], v[48:49], v[76:77]
	v_fma_f64 v[76:77], v[58:59], s[2:3], v[32:33]
	v_fma_f64 v[50:51], v[82:83], s[16:17], v[50:51]
	;; [unrolled: 1-line block ×4, first 2 shown]
	v_add_f64 v[32:33], v[56:57], v[60:61]
	v_fma_f64 v[48:49], v[70:71], s[16:17], v[66:67]
	v_fma_f64 v[52:53], v[70:71], s[16:17], v[52:53]
	v_fma_f64 v[56:57], v[74:75], s[16:17], v[72:73]
	v_fma_f64 v[60:61], v[74:75], s[16:17], v[76:77]
	ds_write_b128 v215, v[10:13]
	ds_write_b128 v215, v[0:3] offset:1632
	ds_write_b128 v215, v[18:21] offset:3264
	;; [unrolled: 1-line block ×14, first 2 shown]
	s_waitcnt lgkmcnt(0)
	s_barrier
	buffer_load_dword v18, off, s[64:67], 0 offset:20 ; 4-byte Folded Reload
	buffer_load_dword v19, off, s[64:67], 0 offset:24 ; 4-byte Folded Reload
	s_and_b64 s[0:1], exec, vcc
	s_mov_b64 exec, s[0:1]
	s_cbranch_execz .LBB0_23
; %bb.22:
	global_load_dwordx4 v[0:3], v254, s[12:13]
	ds_read_b128 v[4:7], v215
	ds_read_b128 v[8:11], v215 offset:480
	s_waitcnt vmcnt(2)
	v_mad_u64_u32 v[12:13], s[0:1], s6, v18, 0
	v_mad_u64_u32 v[14:15], s[0:1], s4, v255, 0
	s_mul_i32 s3, s5, 0x1e0
	s_mul_hi_u32 s6, s4, 0x1e0
	s_waitcnt vmcnt(1)
	v_mad_u64_u32 v[18:19], s[0:1], s7, v18, v[13:14]
	s_mul_i32 s2, s4, 0x1e0
	s_add_i32 s3, s6, s3
	v_mov_b32_e32 v13, v18
	v_mov_b32_e32 v18, s13
	s_movk_i32 s6, 0x1000
	s_waitcnt vmcnt(0) lgkmcnt(1)
	v_mul_f64 v[16:17], v[6:7], v[2:3]
	v_mul_f64 v[2:3], v[4:5], v[2:3]
	v_fma_f64 v[4:5], v[4:5], v[0:1], v[16:17]
	v_fma_f64 v[0:1], v[0:1], v[6:7], -v[2:3]
	v_mad_u64_u32 v[19:20], s[0:1], s5, v255, v[15:16]
	s_mov_b32 s0, 0x10101010
	s_mov_b32 s1, 0x3f601010
	v_lshlrev_b64 v[6:7], 4, v[12:13]
	v_mov_b32_e32 v15, v19
	v_mul_f64 v[2:3], v[4:5], s[0:1]
	v_mul_f64 v[4:5], v[0:1], s[0:1]
	v_mov_b32_e32 v16, s15
	v_lshlrev_b64 v[12:13], 4, v[14:15]
	v_add_co_u32_e32 v0, vcc, s14, v6
	v_addc_co_u32_e32 v1, vcc, v16, v7, vcc
	v_add_co_u32_e32 v6, vcc, v0, v12
	v_addc_co_u32_e32 v7, vcc, v1, v13, vcc
	global_store_dwordx4 v[6:7], v[2:5], off
	global_load_dwordx4 v[2:5], v254, s[12:13] offset:480
	v_add_co_u32_e32 v14, vcc, s2, v6
	s_waitcnt vmcnt(0) lgkmcnt(0)
	v_mul_f64 v[12:13], v[10:11], v[4:5]
	v_mul_f64 v[4:5], v[8:9], v[4:5]
	v_fma_f64 v[8:9], v[8:9], v[2:3], v[12:13]
	v_fma_f64 v[4:5], v[2:3], v[10:11], -v[4:5]
	v_mul_f64 v[2:3], v[8:9], s[0:1]
	v_mul_f64 v[4:5], v[4:5], s[0:1]
	v_mov_b32_e32 v8, s3
	v_addc_co_u32_e32 v15, vcc, v7, v8, vcc
	global_store_dwordx4 v[14:15], v[2:5], off
	global_load_dwordx4 v[2:5], v254, s[12:13] offset:960
	ds_read_b128 v[6:9], v215 offset:960
	ds_read_b128 v[10:13], v215 offset:1440
	s_waitcnt vmcnt(0) lgkmcnt(1)
	v_mul_f64 v[16:17], v[8:9], v[4:5]
	v_mul_f64 v[4:5], v[6:7], v[4:5]
	v_fma_f64 v[6:7], v[6:7], v[2:3], v[16:17]
	v_fma_f64 v[4:5], v[2:3], v[8:9], -v[4:5]
	v_mul_f64 v[2:3], v[6:7], s[0:1]
	v_mul_f64 v[4:5], v[4:5], s[0:1]
	v_mov_b32_e32 v7, s3
	v_add_co_u32_e32 v6, vcc, s2, v14
	v_addc_co_u32_e32 v7, vcc, v15, v7, vcc
	v_add_co_u32_e32 v14, vcc, s2, v6
	global_store_dwordx4 v[6:7], v[2:5], off
	global_load_dwordx4 v[2:5], v254, s[12:13] offset:1440
	s_waitcnt vmcnt(0) lgkmcnt(0)
	v_mul_f64 v[8:9], v[12:13], v[4:5]
	v_mul_f64 v[4:5], v[10:11], v[4:5]
	v_fma_f64 v[8:9], v[10:11], v[2:3], v[8:9]
	v_fma_f64 v[4:5], v[2:3], v[12:13], -v[4:5]
	v_mul_f64 v[2:3], v[8:9], s[0:1]
	v_mul_f64 v[4:5], v[4:5], s[0:1]
	v_mov_b32_e32 v8, s3
	v_addc_co_u32_e32 v15, vcc, v7, v8, vcc
	global_store_dwordx4 v[14:15], v[2:5], off
	global_load_dwordx4 v[2:5], v254, s[12:13] offset:1920
	ds_read_b128 v[6:9], v215 offset:1920
	ds_read_b128 v[10:13], v215 offset:2400
	s_waitcnt vmcnt(0) lgkmcnt(1)
	v_mul_f64 v[16:17], v[8:9], v[4:5]
	v_mul_f64 v[4:5], v[6:7], v[4:5]
	v_fma_f64 v[6:7], v[6:7], v[2:3], v[16:17]
	v_fma_f64 v[4:5], v[2:3], v[8:9], -v[4:5]
	v_mul_f64 v[2:3], v[6:7], s[0:1]
	v_mul_f64 v[4:5], v[4:5], s[0:1]
	v_mov_b32_e32 v7, s3
	v_add_co_u32_e32 v6, vcc, s2, v14
	v_addc_co_u32_e32 v7, vcc, v15, v7, vcc
	v_add_co_u32_e32 v14, vcc, s2, v6
	global_store_dwordx4 v[6:7], v[2:5], off
	global_load_dwordx4 v[2:5], v254, s[12:13] offset:2400
	;; [unrolled: 26-line block ×3, first 2 shown]
	s_waitcnt vmcnt(0) lgkmcnt(0)
	v_mul_f64 v[8:9], v[12:13], v[4:5]
	v_mul_f64 v[4:5], v[10:11], v[4:5]
	v_fma_f64 v[8:9], v[10:11], v[2:3], v[8:9]
	v_fma_f64 v[4:5], v[2:3], v[12:13], -v[4:5]
	v_mul_f64 v[2:3], v[8:9], s[0:1]
	v_mul_f64 v[4:5], v[4:5], s[0:1]
	v_mov_b32_e32 v8, s3
	v_addc_co_u32_e32 v15, vcc, v7, v8, vcc
	global_store_dwordx4 v[14:15], v[2:5], off
	global_load_dwordx4 v[2:5], v254, s[12:13] offset:3840
	ds_read_b128 v[6:9], v215 offset:3840
	ds_read_b128 v[10:13], v215 offset:4320
	s_waitcnt vmcnt(0) lgkmcnt(1)
	v_mul_f64 v[16:17], v[8:9], v[4:5]
	v_mul_f64 v[4:5], v[6:7], v[4:5]
	v_fma_f64 v[6:7], v[6:7], v[2:3], v[16:17]
	v_fma_f64 v[4:5], v[2:3], v[8:9], -v[4:5]
	v_add_co_u32_e32 v8, vcc, s12, v254
	v_addc_co_u32_e32 v9, vcc, 0, v18, vcc
	v_add_co_u32_e32 v16, vcc, s6, v8
	v_mul_f64 v[2:3], v[6:7], s[0:1]
	v_mul_f64 v[4:5], v[4:5], s[0:1]
	v_addc_co_u32_e32 v17, vcc, 0, v9, vcc
	v_mov_b32_e32 v18, s3
	v_add_co_u32_e32 v6, vcc, s2, v14
	v_addc_co_u32_e32 v7, vcc, v15, v18, vcc
	global_store_dwordx4 v[6:7], v[2:5], off
	global_load_dwordx4 v[2:5], v[16:17], off offset:224
	v_add_co_u32_e32 v14, vcc, s2, v6
	s_waitcnt vmcnt(0) lgkmcnt(0)
	v_mul_f64 v[8:9], v[12:13], v[4:5]
	v_mul_f64 v[4:5], v[10:11], v[4:5]
	v_fma_f64 v[8:9], v[10:11], v[2:3], v[8:9]
	v_fma_f64 v[4:5], v[2:3], v[12:13], -v[4:5]
	v_mul_f64 v[2:3], v[8:9], s[0:1]
	v_mul_f64 v[4:5], v[4:5], s[0:1]
	v_mov_b32_e32 v8, s3
	v_addc_co_u32_e32 v15, vcc, v7, v8, vcc
	global_store_dwordx4 v[14:15], v[2:5], off
	global_load_dwordx4 v[2:5], v[16:17], off offset:704
	ds_read_b128 v[6:9], v215 offset:4800
	ds_read_b128 v[10:13], v215 offset:5280
	s_waitcnt vmcnt(0) lgkmcnt(1)
	v_mul_f64 v[18:19], v[8:9], v[4:5]
	v_mul_f64 v[4:5], v[6:7], v[4:5]
	v_fma_f64 v[6:7], v[6:7], v[2:3], v[18:19]
	v_fma_f64 v[4:5], v[2:3], v[8:9], -v[4:5]
	v_mul_f64 v[2:3], v[6:7], s[0:1]
	v_mul_f64 v[4:5], v[4:5], s[0:1]
	v_mov_b32_e32 v7, s3
	v_add_co_u32_e32 v6, vcc, s2, v14
	v_addc_co_u32_e32 v7, vcc, v15, v7, vcc
	v_add_co_u32_e32 v14, vcc, s2, v6
	global_store_dwordx4 v[6:7], v[2:5], off
	global_load_dwordx4 v[2:5], v[16:17], off offset:1184
	s_waitcnt vmcnt(0) lgkmcnt(0)
	v_mul_f64 v[8:9], v[12:13], v[4:5]
	v_mul_f64 v[4:5], v[10:11], v[4:5]
	v_fma_f64 v[8:9], v[10:11], v[2:3], v[8:9]
	v_fma_f64 v[4:5], v[2:3], v[12:13], -v[4:5]
	v_mul_f64 v[2:3], v[8:9], s[0:1]
	v_mul_f64 v[4:5], v[4:5], s[0:1]
	v_mov_b32_e32 v8, s3
	v_addc_co_u32_e32 v15, vcc, v7, v8, vcc
	global_store_dwordx4 v[14:15], v[2:5], off
	global_load_dwordx4 v[2:5], v[16:17], off offset:1664
	ds_read_b128 v[6:9], v215 offset:5760
	ds_read_b128 v[10:13], v215 offset:6240
	s_waitcnt vmcnt(0) lgkmcnt(1)
	v_mul_f64 v[18:19], v[8:9], v[4:5]
	v_mul_f64 v[4:5], v[6:7], v[4:5]
	v_fma_f64 v[6:7], v[6:7], v[2:3], v[18:19]
	v_fma_f64 v[4:5], v[2:3], v[8:9], -v[4:5]
	v_mul_f64 v[2:3], v[6:7], s[0:1]
	v_mul_f64 v[4:5], v[4:5], s[0:1]
	v_mov_b32_e32 v7, s3
	v_add_co_u32_e32 v6, vcc, s2, v14
	v_addc_co_u32_e32 v7, vcc, v15, v7, vcc
	v_add_co_u32_e32 v14, vcc, s2, v6
	global_store_dwordx4 v[6:7], v[2:5], off
	global_load_dwordx4 v[2:5], v[16:17], off offset:2144
	s_waitcnt vmcnt(0) lgkmcnt(0)
	v_mul_f64 v[8:9], v[12:13], v[4:5]
	v_mul_f64 v[4:5], v[10:11], v[4:5]
	v_fma_f64 v[8:9], v[10:11], v[2:3], v[8:9]
	v_fma_f64 v[4:5], v[2:3], v[12:13], -v[4:5]
	v_mul_f64 v[2:3], v[8:9], s[0:1]
	v_mul_f64 v[4:5], v[4:5], s[0:1]
	v_mov_b32_e32 v8, s3
	v_addc_co_u32_e32 v15, vcc, v7, v8, vcc
	global_store_dwordx4 v[14:15], v[2:5], off
	global_load_dwordx4 v[2:5], v[16:17], off offset:2624
	ds_read_b128 v[6:9], v215 offset:6720
	ds_read_b128 v[10:13], v215 offset:7200
	s_waitcnt vmcnt(0) lgkmcnt(1)
	v_mul_f64 v[18:19], v[8:9], v[4:5]
	v_mul_f64 v[4:5], v[6:7], v[4:5]
	v_fma_f64 v[6:7], v[6:7], v[2:3], v[18:19]
	v_fma_f64 v[4:5], v[2:3], v[8:9], -v[4:5]
	v_mul_f64 v[2:3], v[6:7], s[0:1]
	v_mul_f64 v[4:5], v[4:5], s[0:1]
	v_mov_b32_e32 v7, s3
	v_add_co_u32_e32 v6, vcc, s2, v14
	v_addc_co_u32_e32 v7, vcc, v15, v7, vcc
	global_store_dwordx4 v[6:7], v[2:5], off
	global_load_dwordx4 v[2:5], v[16:17], off offset:3104
	v_add_co_u32_e32 v6, vcc, s2, v6
	s_waitcnt vmcnt(0) lgkmcnt(0)
	v_mul_f64 v[8:9], v[12:13], v[4:5]
	v_mul_f64 v[4:5], v[10:11], v[4:5]
	v_fma_f64 v[8:9], v[10:11], v[2:3], v[8:9]
	v_fma_f64 v[4:5], v[2:3], v[12:13], -v[4:5]
	v_or_b32_e32 v12, 0x1e0, v255
	v_mul_f64 v[2:3], v[8:9], s[0:1]
	v_mul_f64 v[4:5], v[4:5], s[0:1]
	v_mov_b32_e32 v9, s3
	v_addc_co_u32_e32 v7, vcc, v7, v9, vcc
	v_lshlrev_b32_e32 v8, 4, v12
	global_store_dwordx4 v[6:7], v[2:5], off
	global_load_dwordx4 v[2:5], v8, s[12:13]
	ds_read_b128 v[6:9], v215 offset:7680
	s_waitcnt vmcnt(0) lgkmcnt(0)
	v_mul_f64 v[10:11], v[8:9], v[4:5]
	v_mul_f64 v[4:5], v[6:7], v[4:5]
	v_fma_f64 v[6:7], v[6:7], v[2:3], v[10:11]
	v_fma_f64 v[4:5], v[2:3], v[8:9], -v[4:5]
	v_mad_u64_u32 v[8:9], s[2:3], s4, v12, 0
	v_mov_b32_e32 v2, v9
	v_mad_u64_u32 v[9:10], s[2:3], s5, v12, v[2:3]
	v_mul_f64 v[2:3], v[6:7], s[0:1]
	v_mul_f64 v[4:5], v[4:5], s[0:1]
	v_lshlrev_b64 v[6:7], 4, v[8:9]
	v_add_co_u32_e32 v0, vcc, v0, v6
	v_addc_co_u32_e32 v1, vcc, v1, v7, vcc
	global_store_dwordx4 v[0:1], v[2:5], off
.LBB0_23:
	s_endpgm
	.section	.rodata,"a",@progbits
	.p2align	6, 0x0
	.amdhsa_kernel bluestein_single_back_len510_dim1_dp_op_CI_CI
		.amdhsa_group_segment_fixed_size 57120
		.amdhsa_private_segment_fixed_size 648
		.amdhsa_kernarg_size 104
		.amdhsa_user_sgpr_count 6
		.amdhsa_user_sgpr_private_segment_buffer 1
		.amdhsa_user_sgpr_dispatch_ptr 0
		.amdhsa_user_sgpr_queue_ptr 0
		.amdhsa_user_sgpr_kernarg_segment_ptr 1
		.amdhsa_user_sgpr_dispatch_id 0
		.amdhsa_user_sgpr_flat_scratch_init 0
		.amdhsa_user_sgpr_private_segment_size 0
		.amdhsa_uses_dynamic_stack 0
		.amdhsa_system_sgpr_private_segment_wavefront_offset 1
		.amdhsa_system_sgpr_workgroup_id_x 1
		.amdhsa_system_sgpr_workgroup_id_y 0
		.amdhsa_system_sgpr_workgroup_id_z 0
		.amdhsa_system_sgpr_workgroup_info 0
		.amdhsa_system_vgpr_workitem_id 0
		.amdhsa_next_free_vgpr 256
		.amdhsa_next_free_sgpr 68
		.amdhsa_reserve_vcc 1
		.amdhsa_reserve_flat_scratch 0
		.amdhsa_float_round_mode_32 0
		.amdhsa_float_round_mode_16_64 0
		.amdhsa_float_denorm_mode_32 3
		.amdhsa_float_denorm_mode_16_64 3
		.amdhsa_dx10_clamp 1
		.amdhsa_ieee_mode 1
		.amdhsa_fp16_overflow 0
		.amdhsa_exception_fp_ieee_invalid_op 0
		.amdhsa_exception_fp_denorm_src 0
		.amdhsa_exception_fp_ieee_div_zero 0
		.amdhsa_exception_fp_ieee_overflow 0
		.amdhsa_exception_fp_ieee_underflow 0
		.amdhsa_exception_fp_ieee_inexact 0
		.amdhsa_exception_int_div_zero 0
	.end_amdhsa_kernel
	.text
.Lfunc_end0:
	.size	bluestein_single_back_len510_dim1_dp_op_CI_CI, .Lfunc_end0-bluestein_single_back_len510_dim1_dp_op_CI_CI
                                        ; -- End function
	.section	.AMDGPU.csdata,"",@progbits
; Kernel info:
; codeLenInByte = 31032
; NumSgprs: 72
; NumVgprs: 256
; ScratchSize: 648
; MemoryBound: 0
; FloatMode: 240
; IeeeMode: 1
; LDSByteSize: 57120 bytes/workgroup (compile time only)
; SGPRBlocks: 8
; VGPRBlocks: 63
; NumSGPRsForWavesPerEU: 72
; NumVGPRsForWavesPerEU: 256
; Occupancy: 1
; WaveLimiterHint : 1
; COMPUTE_PGM_RSRC2:SCRATCH_EN: 1
; COMPUTE_PGM_RSRC2:USER_SGPR: 6
; COMPUTE_PGM_RSRC2:TRAP_HANDLER: 0
; COMPUTE_PGM_RSRC2:TGID_X_EN: 1
; COMPUTE_PGM_RSRC2:TGID_Y_EN: 0
; COMPUTE_PGM_RSRC2:TGID_Z_EN: 0
; COMPUTE_PGM_RSRC2:TIDIG_COMP_CNT: 0
	.type	__hip_cuid_96505d1f6222122b,@object ; @__hip_cuid_96505d1f6222122b
	.section	.bss,"aw",@nobits
	.globl	__hip_cuid_96505d1f6222122b
__hip_cuid_96505d1f6222122b:
	.byte	0                               ; 0x0
	.size	__hip_cuid_96505d1f6222122b, 1

	.ident	"AMD clang version 19.0.0git (https://github.com/RadeonOpenCompute/llvm-project roc-6.4.0 25133 c7fe45cf4b819c5991fe208aaa96edf142730f1d)"
	.section	".note.GNU-stack","",@progbits
	.addrsig
	.addrsig_sym __hip_cuid_96505d1f6222122b
	.amdgpu_metadata
---
amdhsa.kernels:
  - .args:
      - .actual_access:  read_only
        .address_space:  global
        .offset:         0
        .size:           8
        .value_kind:     global_buffer
      - .actual_access:  read_only
        .address_space:  global
        .offset:         8
        .size:           8
        .value_kind:     global_buffer
      - .actual_access:  read_only
        .address_space:  global
        .offset:         16
        .size:           8
        .value_kind:     global_buffer
      - .actual_access:  read_only
        .address_space:  global
        .offset:         24
        .size:           8
        .value_kind:     global_buffer
      - .actual_access:  read_only
        .address_space:  global
        .offset:         32
        .size:           8
        .value_kind:     global_buffer
      - .offset:         40
        .size:           8
        .value_kind:     by_value
      - .address_space:  global
        .offset:         48
        .size:           8
        .value_kind:     global_buffer
      - .address_space:  global
        .offset:         56
        .size:           8
        .value_kind:     global_buffer
      - .address_space:  global
        .offset:         64
        .size:           8
        .value_kind:     global_buffer
      - .address_space:  global
        .offset:         72
        .size:           8
        .value_kind:     global_buffer
      - .offset:         80
        .size:           4
        .value_kind:     by_value
      - .address_space:  global
        .offset:         88
        .size:           8
        .value_kind:     global_buffer
      - .address_space:  global
        .offset:         96
        .size:           8
        .value_kind:     global_buffer
    .group_segment_fixed_size: 57120
    .kernarg_segment_align: 8
    .kernarg_segment_size: 104
    .language:       OpenCL C
    .language_version:
      - 2
      - 0
    .max_flat_workgroup_size: 238
    .name:           bluestein_single_back_len510_dim1_dp_op_CI_CI
    .private_segment_fixed_size: 648
    .sgpr_count:     72
    .sgpr_spill_count: 0
    .symbol:         bluestein_single_back_len510_dim1_dp_op_CI_CI.kd
    .uniform_work_group_size: 1
    .uses_dynamic_stack: false
    .vgpr_count:     256
    .vgpr_spill_count: 201
    .wavefront_size: 64
amdhsa.target:   amdgcn-amd-amdhsa--gfx906
amdhsa.version:
  - 1
  - 2
...

	.end_amdgpu_metadata
